;; amdgpu-corpus repo=ROCm/rocFFT kind=compiled arch=gfx950 opt=O3
	.text
	.amdgcn_target "amdgcn-amd-amdhsa--gfx950"
	.amdhsa_code_object_version 6
	.protected	bluestein_single_fwd_len1352_dim1_sp_op_CI_CI ; -- Begin function bluestein_single_fwd_len1352_dim1_sp_op_CI_CI
	.globl	bluestein_single_fwd_len1352_dim1_sp_op_CI_CI
	.p2align	8
	.type	bluestein_single_fwd_len1352_dim1_sp_op_CI_CI,@function
bluestein_single_fwd_len1352_dim1_sp_op_CI_CI: ; @bluestein_single_fwd_len1352_dim1_sp_op_CI_CI
; %bb.0:
	s_load_dwordx4 s[12:15], s[0:1], 0x28
	v_mul_u32_u24_e32 v1, 0x4ed, v0
	v_add_u32_sdwa v8, s2, v1 dst_sel:DWORD dst_unused:UNUSED_PAD src0_sel:DWORD src1_sel:WORD_1
	v_mov_b32_e32 v9, 0
	s_waitcnt lgkmcnt(0)
	v_cmp_gt_u64_e32 vcc, s[12:13], v[8:9]
	s_and_saveexec_b64 s[2:3], vcc
	s_cbranch_execz .LBB0_10
; %bb.1:
	s_load_dwordx4 s[4:7], s[0:1], 0x18
	s_load_dwordx4 s[8:11], s[0:1], 0x0
	v_mov_b32_e32 v2, s14
	v_mov_b32_e32 v3, s15
	;; [unrolled: 1-line block ×3, first 2 shown]
	s_waitcnt lgkmcnt(0)
	s_load_dwordx4 s[12:15], s[4:5], 0x0
	v_mul_lo_u16_sdwa v1, v1, v4 dst_sel:DWORD dst_unused:UNUSED_PAD src0_sel:WORD_1 src1_sel:DWORD
	v_sub_u16_e32 v172, v0, v1
	v_mov_b32_e32 v40, 0x1520
	v_accvgpr_write_b32 a22, v8
	s_waitcnt lgkmcnt(0)
	v_mad_u64_u32 v[0:1], s[2:3], s14, v8, 0
	v_mov_b32_e32 v4, v1
	v_mad_u64_u32 v[4:5], s[2:3], s15, v8, v[4:5]
	v_mov_b32_e32 v1, v4
	v_mad_u64_u32 v[4:5], s[2:3], s12, v172, 0
	v_mov_b32_e32 v6, v5
	v_mad_u64_u32 v[6:7], s[2:3], s13, v172, v[6:7]
	v_mov_b32_e32 v5, v6
	v_lshl_add_u64 v[14:15], v[0:1], 3, v[2:3]
	v_lshl_add_u64 v[0:1], v[4:5], 3, v[14:15]
	v_mov_b32_e32 v149, v9
	v_mad_u64_u32 v[8:9], s[2:3], s12, v40, v[0:1]
	v_lshlrev_b32_e32 v148, 3, v172
	s_mul_i32 s2, s13, 0x1520
	v_lshl_add_u64 v[2:3], s[8:9], 0, v[148:149]
	v_add_u32_e32 v9, s2, v9
	s_movk_i32 s3, 0x1000
	global_load_dwordx2 v[4:5], v[0:1], off
	global_load_dwordx2 v[6:7], v[8:9], off
	v_add_co_u32_e32 v0, vcc, s3, v2
	v_mov_b32_e32 v41, 0xffffec80
	s_mul_i32 s3, s13, 0xffffec80
	v_mad_u64_u32 v[10:11], s[4:5], s12, v41, v[8:9]
	s_sub_i32 s3, s3, s12
	v_add_u32_e32 v11, s3, v11
	v_addc_co_u32_e32 v1, vcc, 0, v3, vcc
	global_load_dwordx2 v[50:51], v148, s[8:9]
	global_load_dwordx2 v[38:39], v[0:1], off offset:1312
	global_load_dwordx2 v[36:37], v148, s[8:9] offset:416
	global_load_dwordx2 v[8:9], v[10:11], off
	v_mad_u64_u32 v[10:11], s[4:5], s12, v40, v[10:11]
	v_add_u32_e32 v11, s2, v11
	v_mad_u64_u32 v[16:17], s[4:5], s12, v41, v[10:11]
	v_add_u32_e32 v17, s3, v17
	;; [unrolled: 2-line block ×3, first 2 shown]
	global_load_dwordx2 v[34:35], v[0:1], off offset:1728
	v_mad_u64_u32 v[20:21], s[4:5], s12, v41, v[18:19]
	global_load_dwordx2 v[10:11], v[10:11], off
	s_nop 0
	global_load_dwordx2 v[12:13], v[16:17], off
	global_load_dwordx2 v[32:33], v148, s[8:9] offset:832
	s_nop 0
	global_load_dwordx2 v[16:17], v[18:19], off
	global_load_dwordx2 v[30:31], v[0:1], off offset:2144
	v_add_u32_e32 v21, s3, v21
	global_load_dwordx2 v[18:19], v[20:21], off
	global_load_dwordx2 v[28:29], v148, s[8:9] offset:1248
	v_or_b32_e32 v26, 0x340, v172
	v_mad_u64_u32 v[22:23], s[4:5], s12, v26, 0
	v_mov_b32_e32 v24, v23
	v_mad_u64_u32 v[24:25], s[4:5], s13, v26, v[24:25]
	v_mov_b32_e32 v23, v24
	v_lshlrev_b32_e32 v202, 3, v26
	v_lshl_add_u64 v[22:23], v[22:23], 3, v[14:15]
	v_accvgpr_write_b32 a6, v26
	global_load_dwordx2 v[26:27], v202, s[8:9]
	global_load_dwordx2 v[14:15], v[22:23], off
	v_mov_b32_e32 v22, 0x1a0
	s_mulk_i32 s13, 0x1a0
	v_mad_u64_u32 v[20:21], s[14:15], s12, v22, v[20:21]
	s_mov_b32 s4, 0
	v_add_u32_e32 v21, s13, v21
	v_mov_b32_e32 v173, s4
	s_load_dwordx4 s[4:7], s[6:7], 0x0
	global_load_dwordx2 v[48:49], v148, s[8:9] offset:1664
	global_load_dwordx2 v[46:47], v[0:1], off offset:64
	global_load_dwordx2 v[44:45], v[0:1], off offset:480
	;; [unrolled: 1-line block ×3, first 2 shown]
	global_load_dwordx2 v[22:23], v[20:21], off
	v_lshl_add_u64 v[60:61], v[172:173], 0, 52
	v_add_u32_e32 v61, 0x1400, v148
	s_movk_i32 s13, 0x2000
	v_add_co_u32_e32 v2, vcc, s13, v2
	v_add_u32_e32 v204, 0x1800, v148
	s_nop 0
	v_addc_co_u32_e32 v3, vcc, 0, v3, vcc
	v_add_u32_e32 v205, 0x400, v148
	v_add_u32_e32 v207, 0x800, v148
	;; [unrolled: 1-line block ×5, first 2 shown]
	v_and_b32_e32 v201, 1, v172
	v_lshlrev_b32_e32 v203, 4, v172
	s_mov_b32 s26, 0xbeedf032
	s_mov_b32 s27, 0x3f62ad3f
	s_mov_b32 s48, s27
	s_mov_b32 s49, s26
	s_mov_b32 s20, 0xbf7e222b
	s_mov_b32 s21, 0x3df6dbef
	s_mov_b32 s44, s21
	s_mov_b32 s45, s20
	s_mov_b32 s16, 0xbf6f5d39
	s_mov_b32 s17, 0xbeb58ec6
	s_mov_b32 s38, s17
	s_mov_b32 s39, s16
	s_mov_b32 s18, 0xbe750f2a
	s_mov_b32 s19, 0xbf788fa5
	s_mov_b32 s46, s19
	s_mov_b32 s47, s18
	s_mov_b32 s28, 0x3f29c268
	s_mov_b32 s55, s28
	s_mov_b32 s22, 0x3f7e222b
	s_mov_b32 s50, s21
	s_mov_b32 s51, s22
	s_mov_b32 s24, 0x3eedf032
	s_mov_b32 s23, s21
	s_mov_b32 s52, s27
	s_waitcnt vmcnt(18)
	v_mul_f32_e32 v24, v5, v51
	v_mul_f32_e32 v25, v4, v51
	v_fmac_f32_e32 v24, v4, v50
	v_fma_f32 v25, v5, v50, -v25
	s_waitcnt vmcnt(17)
	v_mul_f32_e32 v4, v7, v39
	v_mul_f32_e32 v5, v6, v39
	v_fmac_f32_e32 v4, v6, v38
	v_fma_f32 v5, v7, v38, -v5
	ds_write_b64 v148, v[4:5] offset:5408
	s_waitcnt vmcnt(15)
	v_mul_f32_e32 v4, v9, v37
	v_mul_f32_e32 v5, v8, v37
	v_fmac_f32_e32 v4, v8, v36
	v_fma_f32 v5, v9, v36, -v5
	ds_write2_b64 v148, v[24:25], v[4:5] offset1:52
	global_load_dwordx2 v[74:75], v[0:1], off offset:2976
	global_load_dwordx2 v[68:69], v[0:1], off offset:3392
	s_waitcnt vmcnt(15)
	v_mul_f32_e32 v4, v11, v35
	v_mul_f32_e32 v5, v10, v35
	s_waitcnt vmcnt(11)
	v_mul_f32_e32 v8, v17, v31
	v_mul_f32_e32 v9, v16, v31
	v_fmac_f32_e32 v4, v10, v34
	v_fma_f32 v5, v11, v34, -v5
	v_fmac_f32_e32 v8, v16, v30
	v_fma_f32 v9, v17, v30, -v9
	v_mul_f32_e32 v6, v13, v33
	v_mul_f32_e32 v7, v12, v33
	ds_write2_b64 v61, v[4:5], v[8:9] offset0:88 offset1:140
	s_waitcnt vmcnt(9)
	v_mul_f32_e32 v4, v19, v29
	v_mul_f32_e32 v5, v18, v29
	v_fmac_f32_e32 v6, v12, v32
	v_fma_f32 v7, v13, v32, -v7
	v_fmac_f32_e32 v4, v18, v28
	v_fma_f32 v5, v19, v28, -v5
	ds_write2_b64 v148, v[6:7], v[4:5] offset0:104 offset1:156
	v_mad_u64_u32 v[6:7], s[14:15], s12, v40, v[20:21]
	v_add_u32_e32 v7, s2, v7
	global_load_dwordx2 v[62:63], v[2:3], off offset:128
	global_load_dwordx2 v[56:57], v[2:3], off offset:544
	;; [unrolled: 1-line block ×3, first 2 shown]
	global_load_dwordx2 v[8:9], v[6:7], off
	v_mad_u64_u32 v[6:7], s[14:15], s12, v41, v[6:7]
	v_add_u32_e32 v7, s3, v7
	global_load_dwordx2 v[10:11], v[6:7], off
	global_load_dwordx2 v[76:77], v148, s[8:9] offset:2080
	v_mad_u64_u32 v[6:7], s[14:15], s12, v40, v[6:7]
	v_add_u32_e32 v7, s2, v7
	global_load_dwordx2 v[12:13], v[6:7], off
	v_mad_u64_u32 v[6:7], s[14:15], s12, v41, v[6:7]
	v_add_u32_e32 v7, s3, v7
	global_load_dwordx2 v[16:17], v[6:7], off
	global_load_dwordx2 v[72:73], v148, s[8:9] offset:2496
	v_mad_u64_u32 v[6:7], s[14:15], s12, v40, v[6:7]
	v_add_u32_e32 v7, s2, v7
	global_load_dwordx2 v[18:19], v[6:7], off
	global_load_dwordx2 v[70:71], v[0:1], off offset:3808
	v_mad_u64_u32 v[0:1], s[14:15], s12, v41, v[6:7]
	v_add_u32_e32 v1, s3, v1
	global_load_dwordx2 v[6:7], v[0:1], off
	global_load_dwordx2 v[66:67], v148, s[8:9] offset:2912
	v_mad_u64_u32 v[0:1], s[14:15], s12, v40, v[0:1]
	s_waitcnt vmcnt(20)
	v_mul_f32_e32 v4, v15, v27
	v_mul_f32_e32 v5, v14, v27
	v_add_u32_e32 v1, s2, v1
	v_fmac_f32_e32 v4, v14, v26
	v_fma_f32 v5, v15, v26, -v5
	global_load_dwordx2 v[14:15], v[0:1], off
	v_mad_u64_u32 v[0:1], s[14:15], s12, v41, v[0:1]
	v_add_u32_e32 v1, s3, v1
	global_load_dwordx2 v[20:21], v[0:1], off
	global_load_dwordx2 v[64:65], v148, s[8:9] offset:3328
	v_mad_u64_u32 v[0:1], s[14:15], s12, v40, v[0:1]
	v_add_u32_e32 v1, s2, v1
	global_load_dwordx2 v[24:25], v[0:1], off
	v_mad_u64_u32 v[0:1], s[14:15], s12, v41, v[0:1]
	v_accvgpr_write_b32 a14, v28
	v_add_u32_e32 v1, s3, v1
	v_accvgpr_write_b32 a15, v29
	global_load_dwordx2 v[28:29], v[0:1], off
	global_load_dwordx2 v[58:59], v148, s[8:9] offset:3744
	v_mad_u64_u32 v[0:1], s[14:15], s12, v40, v[0:1]
	v_accvgpr_write_b32 a16, v30
	v_add_u32_e32 v1, s2, v1
	v_accvgpr_write_b32 a17, v31
	global_load_dwordx2 v[30:31], v[0:1], off
	v_mad_u64_u32 v[0:1], s[14:15], s12, v41, v[0:1]
	v_accvgpr_write_b32 a20, v32
	v_add_u32_e32 v1, s3, v1
	v_accvgpr_write_b32 a21, v33
	global_load_dwordx2 v[32:33], v[0:1], off
	v_mad_u64_u32 v[0:1], s[14:15], s12, v40, v[0:1]
	v_accvgpr_write_b32 a26, v34
	v_add_u32_e32 v1, s2, v1
	v_accvgpr_write_b32 a27, v35
	global_load_dwordx2 v[34:35], v[0:1], off
	global_load_dwordx2 v[54:55], v[2:3], off offset:1376
	v_mad_u64_u32 v[0:1], s[14:15], s12, v41, v[0:1]
	v_accvgpr_write_b32 a30, v36
	v_add_u32_e32 v1, s3, v1
	v_accvgpr_write_b32 a31, v37
	global_load_dwordx2 v[36:37], v[0:1], off
	v_mad_u64_u32 v[0:1], s[14:15], s12, v40, v[0:1]
	v_accvgpr_write_b32 a36, v50
	v_accvgpr_write_b32 a32, v38
	;; [unrolled: 1-line block ×3, first 2 shown]
	v_add_u32_e32 v1, s2, v1
	v_accvgpr_write_b32 a37, v51
	v_accvgpr_write_b32 a33, v39
	;; [unrolled: 1-line block ×3, first 2 shown]
	s_waitcnt vmcnt(26)
	v_mul_f32_e32 v26, v23, v49
	global_load_dwordx2 v[38:39], v[0:1], off
	global_load_dwordx2 v[50:51], v[2:3], off offset:1792
	v_mad_u64_u32 v[0:1], s[14:15], s12, v41, v[0:1]
	v_fmac_f32_e32 v26, v22, v48
	v_mul_f32_e32 v22, v22, v49
	v_add_u32_e32 v1, s3, v1
	v_fma_f32 v27, v23, v48, -v22
	global_load_dwordx2 v[22:23], v[0:1], off
	v_mad_u64_u32 v[0:1], s[12:13], s12, v40, v[0:1]
	v_accvgpr_write_b32 a8, v48
	v_add_u32_e32 v1, s2, v1
	v_accvgpr_write_b32 a9, v49
	global_load_dwordx2 v[40:41], v[0:1], off
	global_load_dwordx2 v[48:49], v[2:3], off offset:2208
	s_waitcnt vmcnt(25)
	v_mul_f32_e32 v0, v9, v75
	v_mul_f32_e32 v1, v8, v75
	v_fmac_f32_e32 v0, v8, v74
	v_fma_f32 v1, v9, v74, -v1
	ds_write2_b64 v204, v[4:5], v[0:1] offset0:64 offset1:116
	s_waitcnt vmcnt(23)
	v_mul_f32_e32 v0, v11, v77
	v_mul_f32_e32 v1, v10, v77
	v_fmac_f32_e32 v0, v10, v76
	v_fma_f32 v1, v11, v76, -v1
	ds_write2_b64 v205, v[26:27], v[0:1] offset0:80 offset1:132
	s_waitcnt vmcnt(22)
	v_mul_f32_e32 v0, v13, v69
	v_mul_f32_e32 v1, v12, v69
	s_waitcnt vmcnt(18)
	v_mul_f32_e32 v4, v19, v71
	v_mul_f32_e32 v5, v18, v71
	v_fmac_f32_e32 v0, v12, v68
	v_fma_f32 v1, v13, v68, -v1
	v_fmac_f32_e32 v4, v18, v70
	v_fma_f32 v5, v19, v70, -v5
	v_mul_f32_e32 v2, v17, v73
	v_mul_f32_e32 v3, v16, v73
	ds_write2_b64 v204, v[0:1], v[4:5] offset0:168 offset1:220
	s_waitcnt vmcnt(16)
	v_mul_f32_e32 v0, v7, v67
	v_mul_f32_e32 v1, v6, v67
	v_fmac_f32_e32 v2, v16, v72
	v_fma_f32 v3, v17, v72, -v3
	v_fmac_f32_e32 v0, v6, v66
	v_fma_f32 v1, v7, v66, -v1
	ds_write2_b64 v207, v[2:3], v[0:1] offset0:56 offset1:108
	s_waitcnt vmcnt(15)
	v_mul_f32_e32 v0, v15, v63
	v_mul_f32_e32 v1, v14, v63
	s_waitcnt vmcnt(12)
	v_mul_f32_e32 v4, v25, v57
	v_mul_f32_e32 v5, v24, v57
	v_fmac_f32_e32 v0, v14, v62
	v_fma_f32 v1, v15, v62, -v1
	v_fmac_f32_e32 v4, v24, v56
	v_fma_f32 v5, v25, v56, -v5
	v_mul_f32_e32 v2, v21, v65
	v_mul_f32_e32 v3, v20, v65
	ds_write2_b64 v209, v[0:1], v[4:5] offset0:16 offset1:68
	s_waitcnt vmcnt(10)
	v_mul_f32_e32 v0, v29, v59
	v_mul_f32_e32 v1, v28, v59
	v_fmac_f32_e32 v2, v20, v64
	v_fma_f32 v3, v21, v64, -v3
	v_fmac_f32_e32 v0, v28, v58
	v_fma_f32 v1, v29, v58, -v1
	ds_write2_b64 v207, v[2:3], v[0:1] offset0:160 offset1:212
	s_waitcnt vmcnt(9)
	v_mul_f32_e32 v0, v31, v53
	v_mul_f32_e32 v1, v30, v53
	v_fmac_f32_e32 v0, v30, v52
	s_waitcnt vmcnt(6)
	v_mul_f32_e32 v4, v35, v55
	v_mul_f32_e32 v5, v34, v55
	v_fma_f32 v1, v31, v52, -v1
	v_fmac_f32_e32 v4, v34, v54
	v_fma_f32 v5, v35, v54, -v5
	v_mul_f32_e32 v2, v33, v47
	v_mul_f32_e32 v3, v32, v47
	ds_write2_b64 v209, v[0:1], v[4:5] offset0:120 offset1:172
	s_waitcnt vmcnt(5)
	v_mul_f32_e32 v0, v37, v45
	v_mul_f32_e32 v1, v36, v45
	v_fmac_f32_e32 v2, v32, v46
	v_fma_f32 v3, v33, v46, -v3
	v_fmac_f32_e32 v0, v36, v44
	v_fma_f32 v1, v37, v44, -v1
	ds_write2_b64 v211, v[2:3], v[0:1] offset0:8 offset1:60
	v_accvgpr_write_b32 a4, v46
	v_accvgpr_write_b32 a2, v44
	s_waitcnt vmcnt(3)
	v_mul_f32_e32 v0, v39, v51
	v_mul_f32_e32 v1, v38, v51
	v_fmac_f32_e32 v0, v38, v50
	v_accvgpr_write_b32 a18, v50
	v_fma_f32 v1, v39, v50, -v1
	v_accvgpr_write_b32 a38, v56
	v_accvgpr_write_b32 a40, v58
	s_waitcnt vmcnt(2)
	v_mul_f32_e32 v2, v23, v43
	v_mul_f32_e32 v3, v22, v43
	v_fmac_f32_e32 v2, v22, v42
	v_fma_f32 v3, v23, v42, -v3
	ds_write_b64 v148, v[2:3] offset:4992
	v_accvgpr_write_b32 a28, v52
	s_waitcnt vmcnt(0)
	v_mul_f32_e32 v2, v41, v49
	v_mul_f32_e32 v3, v40, v49
	v_fmac_f32_e32 v2, v40, v48
	v_accvgpr_write_b32 a10, v48
	v_fma_f32 v3, v41, v48, -v3
	v_accvgpr_write_b32 a5, v47
	v_accvgpr_write_b32 a34, v54
	;; [unrolled: 1-line block ×5, first 2 shown]
	ds_write2_b64 v149, v[0:1], v[2:3] offset0:96 offset1:148
	s_waitcnt lgkmcnt(0)
	; wave barrier
	s_waitcnt lgkmcnt(0)
	ds_read2_b64 v[0:3], v148 offset1:52
	ds_read2_b64 v[4:7], v61 offset0:88 offset1:140
	ds_read2_b64 v[44:47], v209 offset0:120 offset1:172
	;; [unrolled: 1-line block ×3, first 2 shown]
	v_accvgpr_write_b32 a46, v66
	v_accvgpr_write_b32 a39, v57
	;; [unrolled: 1-line block ×5, first 2 shown]
	v_lshlrev_b16_e32 v8, 1, v172
	ds_read2_b64 v[52:55], v149 offset0:96 offset1:148
	ds_read2_b64 v[56:59], v211 offset0:112 offset1:164
	v_accvgpr_write_b32 a47, v67
	v_accvgpr_write_b32 a0, v42
	v_lshlrev_b32_e32 v66, 3, v8
	ds_read2_b64 v[8:11], v148 offset0:104 offset1:156
	ds_read2_b64 v[24:27], v204 offset0:168 offset1:220
	;; [unrolled: 1-line block ×3, first 2 shown]
	v_accvgpr_write_b32 a1, v43
	ds_read2_b64 v[12:15], v204 offset0:64 offset1:116
	ds_read2_b64 v[20:23], v205 offset0:80 offset1:132
	;; [unrolled: 1-line block ×4, first 2 shown]
	v_accvgpr_write_b32 a44, v64
	v_accvgpr_write_b32 a42, v62
	;; [unrolled: 1-line block ×3, first 2 shown]
	s_waitcnt lgkmcnt(9)
	v_pk_add_f32 v[64:65], v[48:49], v[46:47] neg_lo:[0,1] neg_hi:[0,1]
	v_accvgpr_write_b32 a43, v63
	v_pk_fma_f32 v[62:63], v[48:49], 2.0, v[64:65] op_sel_hi:[1,0,1] neg_lo:[0,0,1] neg_hi:[0,0,1]
	s_waitcnt lgkmcnt(8)
	v_pk_add_f32 v[48:49], v[50:51], v[52:53] neg_lo:[0,1] neg_hi:[0,1]
	s_waitcnt lgkmcnt(7)
	v_pk_add_f32 v[52:53], v[56:57], v[54:55] neg_lo:[0,1] neg_hi:[0,1]
	v_pk_add_f32 v[4:5], v[2:3], v[4:5] neg_lo:[0,1] neg_hi:[0,1]
	s_waitcnt lgkmcnt(6)
	v_pk_add_f32 v[18:19], v[8:9], v[6:7] neg_lo:[0,1] neg_hi:[0,1]
	s_waitcnt lgkmcnt(4)
	v_pk_add_f32 v[38:39], v[28:29], v[26:27] neg_lo:[0,1] neg_hi:[0,1]
	v_pk_fma_f32 v[46:47], v[50:51], 2.0, v[48:49] op_sel_hi:[1,0,1] neg_lo:[0,0,1] neg_hi:[0,0,1]
	v_pk_fma_f32 v[50:51], v[56:57], 2.0, v[52:53] op_sel_hi:[1,0,1] neg_lo:[0,0,1] neg_hi:[0,0,1]
	v_pk_add_f32 v[56:57], v[0:1], v[58:59] neg_lo:[0,1] neg_hi:[0,1]
	v_lshlrev_b32_e32 v67, 4, v60
	v_pk_fma_f32 v[2:3], v[2:3], 2.0, v[4:5] op_sel_hi:[1,0,1] neg_lo:[0,0,1] neg_hi:[0,0,1]
	v_pk_fma_f32 v[16:17], v[8:9], 2.0, v[18:19] op_sel_hi:[1,0,1] neg_lo:[0,0,1] neg_hi:[0,0,1]
	s_waitcnt lgkmcnt(3)
	v_pk_add_f32 v[8:9], v[10:11], v[12:13] neg_lo:[0,1] neg_hi:[0,1]
	s_waitcnt lgkmcnt(2)
	v_pk_add_f32 v[12:13], v[20:21], v[14:15] neg_lo:[0,1] neg_hi:[0,1]
	v_pk_add_f32 v[24:25], v[22:23], v[24:25] neg_lo:[0,1] neg_hi:[0,1]
	v_pk_fma_f32 v[36:37], v[28:29], 2.0, v[38:39] op_sel_hi:[1,0,1] neg_lo:[0,0,1] neg_hi:[0,0,1]
	s_waitcnt lgkmcnt(1)
	v_pk_add_f32 v[28:29], v[30:31], v[32:33] neg_lo:[0,1] neg_hi:[0,1]
	s_waitcnt lgkmcnt(0)
	v_pk_add_f32 v[32:33], v[40:41], v[34:35] neg_lo:[0,1] neg_hi:[0,1]
	v_pk_add_f32 v[44:45], v[42:43], v[44:45] neg_lo:[0,1] neg_hi:[0,1]
	v_pk_fma_f32 v[54:55], v[0:1], 2.0, v[56:57] op_sel_hi:[1,0,1] neg_lo:[0,0,1] neg_hi:[0,0,1]
	v_mul_u32_u24_e32 v0, 12, v201
	v_pk_fma_f32 v[6:7], v[10:11], 2.0, v[8:9] op_sel_hi:[1,0,1] neg_lo:[0,0,1] neg_hi:[0,0,1]
	v_pk_fma_f32 v[10:11], v[20:21], 2.0, v[12:13] op_sel_hi:[1,0,1] neg_lo:[0,0,1] neg_hi:[0,0,1]
	;; [unrolled: 1-line block ×6, first 2 shown]
	s_waitcnt lgkmcnt(0)
	; wave barrier
	ds_write_b128 v66, v[54:57]
	ds_write_b128 v67, v[2:5]
	ds_write_b128 v203, v[16:19] offset:1664
	ds_write_b128 v203, v[6:9] offset:2496
	;; [unrolled: 1-line block ×11, first 2 shown]
	v_lshlrev_b32_e32 v24, 3, v0
	s_waitcnt lgkmcnt(0)
	; wave barrier
	s_waitcnt lgkmcnt(0)
	global_load_dwordx4 v[8:11], v24, s[10:11] offset:48
	global_load_dwordx4 v[12:15], v24, s[10:11] offset:32
	;; [unrolled: 1-line block ×3, first 2 shown]
	global_load_dwordx4 v[4:7], v24, s[10:11]
	global_load_dwordx4 v[16:19], v24, s[10:11] offset:80
	global_load_dwordx4 v[20:23], v24, s[10:11] offset:64
	ds_read2_b64 v[28:31], v207 offset0:160 offset1:212
	ds_read2_b64 v[24:27], v148 offset0:104 offset1:156
	;; [unrolled: 1-line block ×4, first 2 shown]
	v_accvgpr_write_b32 a56, v76
	v_accvgpr_write_b32 a57, v77
	;; [unrolled: 1-line block ×6, first 2 shown]
	ds_read2_b64 v[84:87], v211 offset0:8 offset1:60
	ds_read2_b64 v[88:91], v211 offset0:112 offset1:164
	;; [unrolled: 1-line block ×8, first 2 shown]
	v_accvgpr_write_b32 a23, v66
	v_accvgpr_write_b32 a25, v67
	;; [unrolled: 1-line block ×6, first 2 shown]
	s_mov_b32 s12, 0xbf52af12
	s_mov_b32 s13, 0x3f116cb1
	;; [unrolled: 1-line block ×24, first 2 shown]
	s_movk_i32 s60, 0xffe6
	s_mov_b32 s61, -1
	v_cmp_gt_u16_e32 vcc, 26, v172
	s_movk_i32 s33, 0x4f
	s_waitcnt vmcnt(5)
	v_mov_b32_e32 v200, v11
	s_waitcnt vmcnt(4)
	v_mov_b32_e32 v118, v15
	;; [unrolled: 2-line block ×3, first 2 shown]
	s_waitcnt vmcnt(2) lgkmcnt(10)
	v_pk_mul_f32 v[40:41], v[24:25], v[4:5]
	v_mov_b32_e32 v42, v5
	v_mov_b32_e32 v40, v41
	v_pk_fma_f32 v[76:77], v[24:25], v[4:5], v[40:41] neg_lo:[0,0,1] neg_hi:[0,0,1]
	v_mov_b32_e32 v40, v25
	v_pk_mul_f32 v[24:25], v[24:25], v[42:43]
	v_mul_f32_e32 v215, v26, v5
	v_pk_fma_f32 v[68:69], v[40:41], v[4:5], v[24:25]
	s_waitcnt lgkmcnt(9)
	v_pk_mul_f32 v[24:25], v[32:33], v[6:7]
	v_mov_b32_e32 v40, v7
	v_mov_b32_e32 v24, v25
	v_pk_fma_f32 v[70:71], v[32:33], v[6:7], v[24:25] neg_lo:[0,0,1] neg_hi:[0,0,1]
	v_mov_b32_e32 v24, v33
	v_pk_mul_f32 v[32:33], v[32:33], v[40:41]
	v_mov_b32_e32 v214, v12
	v_pk_fma_f32 v[80:81], v[24:25], v[6:7], v[32:33]
	s_waitcnt lgkmcnt(8)
	v_pk_mul_f32 v[24:25], v[36:37], v[0:1]
	v_mov_b32_e32 v32, v1
	v_mov_b32_e32 v24, v25
	v_pk_fma_f32 v[78:79], v[36:37], v[0:1], v[24:25] neg_lo:[0,0,1] neg_hi:[0,0,1]
	v_mov_b32_e32 v24, v37
	v_pk_mul_f32 v[32:33], v[36:37], v[32:33]
	v_fmac_f32_e32 v215, v27, v4
	v_pk_fma_f32 v[82:83], v[24:25], v[0:1], v[32:33]
	v_mul_f32_e32 v24, v27, v5
	v_fma_f32 v213, v26, v4, -v24
	v_mul_f32_e32 v24, v35, v7
	v_fma_f32 v32, v34, v6, -v24
	v_mul_f32_e32 v24, v39, v1
	v_mul_f32_e32 v33, v34, v7
	v_fma_f32 v34, v38, v0, -v24
	v_lshrrev_b32_e32 v24, 1, v172
	v_mul_u32_u24_e32 v24, 26, v24
	v_or_b32_e32 v24, v24, v201
	v_lshlrev_b32_e32 v208, 3, v24
	v_pk_mul_f32 v[24:25], v[30:31], v[206:207] op_sel_hi:[1,0]
	v_fmac_f32_e32 v33, v35, v6
	v_pk_fma_f32 v[36:37], v[30:31], v[2:3], v[24:25] op_sel:[0,0,1] op_sel_hi:[1,1,0] neg_lo:[0,0,1] neg_hi:[0,0,1]
	v_pk_fma_f32 v[46:47], v[30:31], v[2:3], v[24:25] op_sel:[0,0,1] op_sel_hi:[1,0,0]
	s_waitcnt lgkmcnt(7)
	v_pk_mul_f32 v[24:25], v[86:87], v[12:13] op_sel:[0,1]
	v_mul_f32_e32 v35, v38, v1
	v_pk_fma_f32 v[30:31], v[86:87], v[214:215], v[24:25] op_sel:[0,0,1] op_sel_hi:[1,1,0] neg_lo:[0,0,1] neg_hi:[0,0,1]
	v_pk_fma_f32 v[48:49], v[86:87], v[12:13], v[24:25] op_sel:[0,0,1] op_sel_hi:[1,0,0]
	s_waitcnt lgkmcnt(6)
	v_pk_mul_f32 v[24:25], v[90:91], v[118:119] op_sel_hi:[1,0]
	v_pk_mul_f32 v[86:87], v[28:29], v[206:207] op_sel_hi:[1,0]
	v_fmac_f32_e32 v35, v39, v0
	v_pk_fma_f32 v[38:39], v[90:91], v[14:15], v[24:25] op_sel:[0,0,1] op_sel_hi:[1,1,0] neg_lo:[0,0,1] neg_hi:[0,0,1]
	v_pk_fma_f32 v[54:55], v[90:91], v[14:15], v[24:25] op_sel:[0,0,1] op_sel_hi:[1,0,0]
	v_pk_fma_f32 v[90:91], v[28:29], v[2:3], v[86:87] op_sel:[0,0,1] op_sel_hi:[1,1,0] neg_lo:[0,0,1] neg_hi:[0,0,1]
	v_pk_fma_f32 v[28:29], v[28:29], v[2:3], v[86:87] op_sel:[0,0,1] op_sel_hi:[1,0,0]
	v_mov_b32_e32 v210, v8
	v_mov_b32_e32 v91, v29
	v_pk_mul_f32 v[28:29], v[84:85], v[12:13] op_sel:[0,1]
	s_waitcnt lgkmcnt(5)
	v_pk_mul_f32 v[24:25], v[94:95], v[8:9] op_sel:[0,1]
	v_pk_fma_f32 v[86:87], v[84:85], v[214:215], v[28:29] op_sel:[0,0,1] op_sel_hi:[1,1,0] neg_lo:[0,0,1] neg_hi:[0,0,1]
	v_pk_fma_f32 v[28:29], v[84:85], v[12:13], v[28:29] op_sel:[0,0,1] op_sel_hi:[1,0,0]
	v_pk_fma_f32 v[40:41], v[94:95], v[210:211], v[24:25] op_sel:[0,0,1] op_sel_hi:[1,1,0] neg_lo:[0,0,1] neg_hi:[0,0,1]
	v_mov_b32_e32 v87, v29
	v_pk_mul_f32 v[28:29], v[88:89], v[118:119] op_sel_hi:[1,0]
	v_pk_fma_f32 v[58:59], v[94:95], v[8:9], v[24:25] op_sel:[0,0,1] op_sel_hi:[1,0,0]
	v_pk_fma_f32 v[84:85], v[88:89], v[14:15], v[28:29] op_sel:[0,0,1] op_sel_hi:[1,1,0] neg_lo:[0,0,1] neg_hi:[0,0,1]
	v_pk_fma_f32 v[28:29], v[88:89], v[14:15], v[28:29] op_sel:[0,0,1] op_sel_hi:[1,0,0]
	s_waitcnt lgkmcnt(4)
	v_pk_mul_f32 v[24:25], v[98:99], v[200:201] op_sel_hi:[1,0]
	v_mov_b32_e32 v85, v29
	v_pk_mul_f32 v[28:29], v[92:93], v[8:9] op_sel:[0,1]
	s_waitcnt vmcnt(0)
	v_mov_b32_e32 v220, v23
	v_mov_b32_e32 v216, v20
	v_pk_fma_f32 v[42:43], v[98:99], v[10:11], v[24:25] op_sel:[0,0,1] op_sel_hi:[1,1,0] neg_lo:[0,0,1] neg_hi:[0,0,1]
	v_pk_fma_f32 v[62:63], v[98:99], v[10:11], v[24:25] op_sel:[0,0,1] op_sel_hi:[1,0,0]
	s_waitcnt lgkmcnt(3)
	v_pk_mul_f32 v[24:25], v[102:103], v[20:21] op_sel:[0,1]
	v_pk_fma_f32 v[88:89], v[92:93], v[210:211], v[28:29] op_sel:[0,0,1] op_sel_hi:[1,1,0] neg_lo:[0,0,1] neg_hi:[0,0,1]
	v_pk_fma_f32 v[28:29], v[92:93], v[8:9], v[28:29] op_sel:[0,0,1] op_sel_hi:[1,0,0]
	v_pk_fma_f32 v[44:45], v[102:103], v[216:217], v[24:25] op_sel:[0,0,1] op_sel_hi:[1,1,0] neg_lo:[0,0,1] neg_hi:[0,0,1]
	v_pk_fma_f32 v[66:67], v[102:103], v[20:21], v[24:25] op_sel:[0,0,1] op_sel_hi:[1,0,0]
	s_waitcnt lgkmcnt(2)
	v_pk_mul_f32 v[24:25], v[106:107], v[220:221] op_sel_hi:[1,0]
	v_mov_b32_e32 v89, v29
	v_pk_mul_f32 v[28:29], v[96:97], v[200:201] op_sel_hi:[1,0]
	v_mov_b32_e32 v116, v19
	v_pk_fma_f32 v[50:51], v[106:107], v[22:23], v[24:25] op_sel:[0,0,1] op_sel_hi:[1,0,0] neg_lo:[0,0,1] neg_hi:[0,0,1]
	v_pk_fma_f32 v[64:65], v[106:107], v[22:23], v[24:25] op_sel:[0,0,1] op_sel_hi:[1,0,0]
	s_waitcnt lgkmcnt(1)
	v_pk_mul_f32 v[24:25], v[110:111], v[16:17] op_sel:[0,1]
	v_pk_fma_f32 v[92:93], v[96:97], v[10:11], v[28:29] op_sel:[0,0,1] op_sel_hi:[1,1,0] neg_lo:[0,0,1] neg_hi:[0,0,1]
	v_pk_fma_f32 v[28:29], v[96:97], v[10:11], v[28:29] op_sel:[0,0,1] op_sel_hi:[1,0,0]
	v_pk_fma_f32 v[52:53], v[110:111], v[16:17], v[24:25] op_sel:[0,0,1] op_sel_hi:[1,0,0] neg_lo:[0,0,1] neg_hi:[0,0,1]
	v_pk_fma_f32 v[72:73], v[110:111], v[16:17], v[24:25] op_sel:[0,0,1] op_sel_hi:[1,0,0]
	s_waitcnt lgkmcnt(0)
	v_pk_mul_f32 v[24:25], v[114:115], v[116:117] op_sel_hi:[1,0]
	v_mov_b32_e32 v93, v29
	v_pk_mul_f32 v[28:29], v[100:101], v[20:21] op_sel:[0,1]
	v_pk_fma_f32 v[56:57], v[114:115], v[18:19], v[24:25] op_sel:[0,0,1] op_sel_hi:[1,0,0] neg_lo:[0,0,1] neg_hi:[0,0,1]
	v_pk_fma_f32 v[74:75], v[114:115], v[18:19], v[24:25] op_sel:[0,0,1] op_sel_hi:[1,0,0]
	ds_read2_b64 v[24:27], v148 offset1:52
	v_pk_fma_f32 v[94:95], v[100:101], v[216:217], v[28:29] op_sel:[0,0,1] op_sel_hi:[1,1,0] neg_lo:[0,0,1] neg_hi:[0,0,1]
	v_pk_fma_f32 v[28:29], v[100:101], v[20:21], v[28:29] op_sel:[0,0,1] op_sel_hi:[1,0,0]
	v_mov_b32_e32 v3, v68
	v_mov_b32_e32 v95, v29
	v_pk_mul_f32 v[28:29], v[104:105], v[220:221] op_sel_hi:[1,0]
	v_mov_b32_e32 v114, v70
	v_pk_fma_f32 v[96:97], v[104:105], v[22:23], v[28:29] op_sel:[0,0,1] op_sel_hi:[1,0,0] neg_lo:[0,0,1] neg_hi:[0,0,1]
	v_pk_fma_f32 v[98:99], v[104:105], v[22:23], v[28:29] op_sel:[0,0,1] op_sel_hi:[1,0,0]
	v_pk_mul_f32 v[28:29], v[108:109], v[16:17] op_sel:[0,1]
	v_mov_b32_e32 v100, v96
	v_pk_fma_f32 v[102:103], v[108:109], v[16:17], v[28:29] op_sel:[0,0,1] op_sel_hi:[1,0,0] neg_lo:[0,0,1] neg_hi:[0,0,1]
	v_pk_fma_f32 v[104:105], v[108:109], v[16:17], v[28:29] op_sel:[0,0,1] op_sel_hi:[1,0,0]
	v_pk_mul_f32 v[28:29], v[112:113], v[116:117] op_sel_hi:[1,0]
	v_mov_b32_e32 v116, v78
	v_pk_fma_f32 v[108:109], v[112:113], v[18:19], v[28:29] op_sel:[0,0,1] op_sel_hi:[1,0,0] neg_lo:[0,0,1] neg_hi:[0,0,1]
	v_pk_fma_f32 v[110:111], v[112:113], v[18:19], v[28:29] op_sel:[0,0,1] op_sel_hi:[1,0,0]
	v_mov_b32_e32 v112, v108
	v_pk_add_f32 v[166:167], v[76:77], v[108:109]
	v_pk_add_f32 v[108:109], v[76:77], v[108:109] neg_lo:[0,1] neg_hi:[0,1]
	v_pk_add_f32 v[146:147], v[78:79], v[96:97]
	v_pk_add_f32 v[96:97], v[78:79], v[96:97] neg_lo:[0,1] neg_hi:[0,1]
	s_waitcnt lgkmcnt(0)
	v_pk_add_f32 v[76:77], v[24:25], v[76:77]
	v_pk_add_f32 v[78:79], v[24:25], v[2:3]
	v_mov_b32_e32 v115, v80
	v_mov_b32_e32 v77, v79
	;; [unrolled: 1-line block ×3, first 2 shown]
	v_pk_add_f32 v[76:77], v[76:77], v[114:115]
	v_mov_b32_e32 v101, v99
	v_pk_add_f32 v[76:77], v[76:77], v[116:117]
	v_mov_b32_e32 v8, v111
	;; [unrolled: 2-line block ×4, first 2 shown]
	v_pk_add_f32 v[76:77], v[76:77], v[84:85]
	v_pk_add_f32 v[28:29], v[2:3], v[110:111]
	;; [unrolled: 1-line block ×3, first 2 shown]
	v_pk_add_f32 v[170:171], v[68:69], v[8:9] neg_lo:[0,1] neg_hi:[0,1]
	v_pk_add_f32 v[76:77], v[76:77], v[92:93]
	v_mov_b32_e32 v167, v108
	v_pk_add_f32 v[76:77], v[76:77], v[94:95]
	v_mov_b32_e32 v113, v111
	v_pk_add_f32 v[76:77], v[76:77], v[100:101]
	v_pk_add_f32 v[168:169], v[70:71], v[102:103]
	v_mov_b32_e32 v11, v80
	v_pk_add_f32 v[102:103], v[70:71], v[102:103] neg_lo:[0,1] neg_hi:[0,1]
	v_mov_b32_e32 v8, v105
	v_pk_add_f32 v[76:77], v[76:77], v[106:107]
	v_mov_b32_e32 v28, v170
	v_pk_mul_f32 v[78:79], v[166:167], s[48:49]
	v_pk_add_f32 v[68:69], v[10:11], v[104:105]
	v_pk_add_f32 v[174:175], v[80:81], v[8:9] neg_lo:[0,1] neg_hi:[0,1]
	v_mov_b32_e32 v8, v99
	v_pk_add_f32 v[106:107], v[76:77], v[112:113]
	v_pk_fma_f32 v[80:81], v[170:171], s[26:27], v[78:79] neg_lo:[1,0,0] neg_hi:[1,0,0]
	v_pk_fma_f32 v[76:77], v[28:29], s[26:27], v[78:79]
	v_mov_b32_e32 v169, v102
	v_mov_b32_e32 v11, v82
	v_pk_add_f32 v[164:165], v[82:83], v[8:9] neg_lo:[0,1] neg_hi:[0,1]
	v_mov_b32_e32 v81, v77
	v_mov_b32_e32 v68, v174
	v_pk_mul_f32 v[82:83], v[168:169], s[40:41]
	v_pk_add_f32 v[140:141], v[86:87], v[92:93]
	v_pk_add_f32 v[104:105], v[86:87], v[92:93] neg_lo:[0,1] neg_hi:[0,1]
	v_pk_add_f32 v[136:137], v[84:85], v[88:89]
	v_pk_add_f32 v[110:111], v[84:85], v[88:89] neg_lo:[0,1] neg_hi:[0,1]
	v_pk_add_f32 v[84:85], v[24:25], v[80:81]
	v_pk_fma_f32 v[86:87], v[174:175], s[12:13], v[82:83] neg_lo:[1,0,0] neg_hi:[1,0,0]
	v_pk_fma_f32 v[80:81], v[68:69], s[12:13], v[82:83]
	v_pk_add_f32 v[70:71], v[10:11], v[98:99]
	v_mov_b32_e32 v87, v81
	v_mov_b32_e32 v147, v96
	v_pk_add_f32 v[88:89], v[86:87], v[84:85]
	v_mov_b32_e32 v70, v164
	v_pk_mul_f32 v[86:87], v[146:147], s[44:45]
	v_pk_add_f32 v[162:163], v[90:91], v[94:95]
	v_pk_add_f32 v[98:99], v[90:91], v[94:95] neg_lo:[0,1] neg_hi:[0,1]
	v_pk_fma_f32 v[90:91], v[164:165], s[20:21], v[86:87] neg_lo:[1,0,0] neg_hi:[1,0,0]
	v_pk_fma_f32 v[84:85], v[70:71], s[20:21], v[86:87]
	v_pk_mul_f32 v[112:113], v[166:167], s[40:41]
	v_mov_b32_e32 v91, v85
	v_pk_add_f32 v[94:95], v[90:91], v[88:89]
	v_mov_b32_e32 v89, v163
	v_mov_b32_e32 v163, v98
	;; [unrolled: 1-line block ×3, first 2 shown]
	v_pk_mul_f32 v[92:93], v[162:163], s[38:39]
	s_nop 0
	v_pk_fma_f32 v[96:97], v[88:89], s[16:17], v[92:93] neg_lo:[1,0,0] neg_hi:[1,0,0]
	v_pk_fma_f32 v[90:91], v[88:89], s[16:17], v[92:93]
	; wave barrier
	s_nop 0
	v_mov_b32_e32 v97, v91
	v_pk_add_f32 v[100:101], v[96:97], v[94:95]
	v_mov_b32_e32 v95, v141
	v_mov_b32_e32 v141, v104
	;; [unrolled: 1-line block ×3, first 2 shown]
	v_pk_mul_f32 v[98:99], v[140:141], s[42:43]
	v_pk_fma_f32 v[130:131], v[170:171], s[12:13], v[112:113] neg_lo:[1,0,0] neg_hi:[1,0,0]
	v_pk_fma_f32 v[102:103], v[94:95], s[14:15], v[98:99] neg_lo:[1,0,0] neg_hi:[1,0,0]
	v_pk_fma_f32 v[96:97], v[94:95], s[14:15], v[98:99]
	v_pk_mul_f32 v[116:117], v[168:169], s[38:39]
	v_mov_b32_e32 v103, v97
	v_pk_add_f32 v[108:109], v[102:103], v[100:101]
	v_mov_b32_e32 v101, v137
	v_mov_b32_e32 v137, v110
	;; [unrolled: 1-line block ×3, first 2 shown]
	v_pk_mul_f32 v[104:105], v[136:137], s[46:47]
	v_pk_fma_f32 v[132:133], v[174:175], s[16:17], v[116:117] neg_lo:[1,0,0] neg_hi:[1,0,0]
	v_pk_fma_f32 v[110:111], v[100:101], s[18:19], v[104:105] neg_lo:[1,0,0] neg_hi:[1,0,0]
	v_pk_fma_f32 v[102:103], v[100:101], s[18:19], v[104:105]
	v_pk_mul_f32 v[118:119], v[146:147], s[46:47]
	v_mov_b32_e32 v111, v103
	v_pk_add_f32 v[108:109], v[110:111], v[108:109]
	ds_write2_b64 v208, v[106:107], v[108:109] offset1:2
	v_pk_fma_f32 v[106:107], v[28:29], s[12:13], v[112:113]
	v_pk_fma_f32 v[108:109], v[68:69], s[16:17], v[116:117]
	v_mov_b32_e32 v131, v107
	v_mov_b32_e32 v133, v109
	v_pk_fma_f32 v[134:135], v[164:165], s[18:19], v[118:119] neg_lo:[1,0,0] neg_hi:[1,0,0]
	v_pk_fma_f32 v[110:111], v[70:71], s[18:19], v[118:119]
	v_pk_mul_f32 v[122:123], v[162:163], s[54:55]
	v_pk_add_f32 v[130:131], v[24:25], v[130:131]
	v_mov_b32_e32 v135, v111
	v_pk_fma_f32 v[138:139], v[88:89], s[28:29], v[122:123] neg_lo:[1,0,0] neg_hi:[1,0,0]
	v_pk_fma_f32 v[114:115], v[88:89], s[28:29], v[122:123]
	v_pk_mul_f32 v[124:125], v[140:141], s[50:51]
	v_pk_add_f32 v[130:131], v[132:133], v[130:131]
	;; [unrolled: 5-line block ×3, first 2 shown]
	v_mov_b32_e32 v143, v121
	v_pk_fma_f32 v[144:145], v[100:101], s[24:25], v[128:129] neg_lo:[1,0,0] neg_hi:[1,0,0]
	v_pk_fma_f32 v[126:127], v[100:101], s[24:25], v[128:129]
	v_pk_add_f32 v[130:131], v[138:139], v[130:131]
	v_mov_b32_e32 v145, v127
	v_pk_add_f32 v[130:131], v[142:143], v[130:131]
	v_pk_mul_f32 v[138:139], v[166:167], s[44:45]
	v_pk_add_f32 v[176:177], v[144:145], v[130:131]
	v_pk_fma_f32 v[142:143], v[170:171], s[20:21], v[138:139] neg_lo:[1,0,0] neg_hi:[1,0,0]
	v_pk_fma_f32 v[130:131], v[28:29], s[20:21], v[138:139]
	v_pk_mul_f32 v[134:135], v[168:169], s[46:47]
	v_mov_b32_e32 v143, v131
	v_pk_fma_f32 v[144:145], v[174:175], s[18:19], v[134:135] neg_lo:[1,0,0] neg_hi:[1,0,0]
	v_pk_fma_f32 v[132:133], v[68:69], s[18:19], v[134:135]
	v_pk_add_f32 v[142:143], v[24:25], v[142:143]
	v_mov_b32_e32 v145, v133
	v_pk_mul_f32 v[154:155], v[146:147], s[2:3]
	v_pk_add_f32 v[144:145], v[144:145], v[142:143]
	v_pk_fma_f32 v[150:151], v[164:165], s[36:37], v[154:155] neg_lo:[1,0,0] neg_hi:[1,0,0]
	v_pk_fma_f32 v[142:143], v[70:71], s[36:37], v[154:155]
	v_pk_mul_f32 v[156:157], v[162:163], s[52:53]
	v_mov_b32_e32 v151, v143
	v_pk_add_f32 v[150:151], v[150:151], v[144:145]
	v_pk_fma_f32 v[152:153], v[88:89], s[24:25], v[156:157] neg_lo:[1,0,0] neg_hi:[1,0,0]
	v_pk_fma_f32 v[144:145], v[88:89], s[24:25], v[156:157]
	v_pk_mul_f32 v[160:161], v[140:141], s[40:41]
	v_mov_b32_e32 v153, v145
	;; [unrolled: 5-line block ×3, first 2 shown]
	v_pk_add_f32 v[178:179], v[158:159], v[152:153]
	v_pk_mul_f32 v[158:159], v[136:137], s[42:43]
	v_pk_fma_f32 v[186:187], v[174:175], s[28:29], v[182:183] neg_lo:[1,0,0] neg_hi:[1,0,0]
	v_pk_fma_f32 v[180:181], v[100:101], s[14:15], v[158:159] neg_lo:[1,0,0] neg_hi:[1,0,0]
	v_pk_fma_f32 v[152:153], v[100:101], s[14:15], v[158:159]
	v_pk_mul_f32 v[188:189], v[146:147], s[52:53]
	v_mov_b32_e32 v181, v153
	v_pk_add_f32 v[178:179], v[180:181], v[178:179]
	v_pk_mul_f32 v[180:181], v[166:167], s[38:39]
	ds_write2_b64 v208, v[176:177], v[178:179] offset0:4 offset1:6
	v_pk_fma_f32 v[184:185], v[170:171], s[16:17], v[180:181] neg_lo:[1,0,0] neg_hi:[1,0,0]
	v_pk_fma_f32 v[176:177], v[28:29], s[16:17], v[180:181]
	v_pk_fma_f32 v[178:179], v[68:69], s[28:29], v[182:183]
	v_mov_b32_e32 v185, v177
	v_mov_b32_e32 v187, v179
	v_pk_add_f32 v[184:185], v[24:25], v[184:185]
	v_pk_fma_f32 v[190:191], v[164:165], s[24:25], v[188:189] neg_lo:[1,0,0] neg_hi:[1,0,0]
	v_pk_add_f32 v[186:187], v[186:187], v[184:185]
	v_pk_fma_f32 v[184:185], v[70:71], s[24:25], v[188:189]
	v_pk_mul_f32 v[192:193], v[162:163], s[44:45]
	v_mov_b32_e32 v191, v185
	v_pk_add_f32 v[190:191], v[190:191], v[186:187]
	v_pk_fma_f32 v[194:195], v[88:89], s[20:21], v[192:193] neg_lo:[1,0,0] neg_hi:[1,0,0]
	v_pk_fma_f32 v[186:187], v[88:89], s[20:21], v[192:193]
	v_pk_mul_f32 v[224:225], v[136:137], s[56:57]
	v_mov_b32_e32 v195, v187
	v_pk_add_f32 v[196:197], v[194:195], v[190:191]
	v_pk_mul_f32 v[194:195], v[140:141], s[58:59]
	v_pk_fma_f32 v[226:227], v[100:101], s[30:31], v[224:225] neg_lo:[1,0,0] neg_hi:[1,0,0]
	v_pk_fma_f32 v[222:223], v[94:95], s[34:35], v[194:195] neg_lo:[1,0,0] neg_hi:[1,0,0]
	v_pk_fma_f32 v[190:191], v[94:95], s[34:35], v[194:195]
	v_pk_mul_f32 v[232:233], v[168:169], s[50:51]
	v_mov_b32_e32 v223, v191
	v_pk_add_f32 v[222:223], v[222:223], v[196:197]
	v_pk_fma_f32 v[196:197], v[100:101], s[30:31], v[224:225]
	v_pk_fma_f32 v[234:235], v[174:175], s[22:23], v[232:233] neg_lo:[1,0,0] neg_hi:[1,0,0]
	v_mov_b32_e32 v227, v197
	v_pk_add_f32 v[222:223], v[226:227], v[222:223]
	v_pk_mul_f32 v[226:227], v[166:167], s[42:43]
	v_pk_fma_f32 v[236:237], v[68:69], s[22:23], v[232:233]
	v_pk_fma_f32 v[228:229], v[170:171], s[14:15], v[226:227] neg_lo:[1,0,0] neg_hi:[1,0,0]
	v_pk_fma_f32 v[230:231], v[28:29], s[14:15], v[226:227]
	v_mov_b32_e32 v235, v237
	v_mov_b32_e32 v229, v231
	v_pk_add_f32 v[228:229], v[24:25], v[228:229]
	v_pk_mul_f32 v[166:167], v[166:167], s[46:47]
	v_pk_add_f32 v[228:229], v[234:235], v[228:229]
	v_pk_mul_f32 v[234:235], v[146:147], s[40:41]
	v_pk_fma_f32 v[170:171], v[170:171], s[18:19], v[166:167] neg_lo:[1,0,0] neg_hi:[1,0,0]
	v_pk_fma_f32 v[238:239], v[164:165], s[12:13], v[234:235] neg_lo:[1,0,0] neg_hi:[1,0,0]
	v_pk_fma_f32 v[240:241], v[70:71], s[12:13], v[234:235]
	v_pk_mul_f32 v[168:169], v[168:169], s[52:53]
	v_mov_b32_e32 v239, v241
	v_pk_add_f32 v[228:229], v[238:239], v[228:229]
	v_pk_mul_f32 v[238:239], v[162:163], s[58:59]
	v_pk_fma_f32 v[174:175], v[174:175], s[24:25], v[168:169] neg_lo:[1,0,0] neg_hi:[1,0,0]
	v_pk_fma_f32 v[242:243], v[88:89], s[34:35], v[238:239] neg_lo:[1,0,0] neg_hi:[1,0,0]
	v_pk_fma_f32 v[244:245], v[88:89], s[34:35], v[238:239]
	v_pk_mul_f32 v[146:147], v[146:147], s[42:43]
	v_mov_b32_e32 v243, v245
	;; [unrolled: 7-line block ×3, first 2 shown]
	v_pk_add_f32 v[228:229], v[246:247], v[228:229]
	v_pk_mul_f32 v[246:247], v[136:137], s[38:39]
	v_mov_b32_e32 v41, v59
	v_pk_fma_f32 v[250:251], v[100:101], s[16:17], v[246:247] neg_lo:[1,0,0] neg_hi:[1,0,0]
	v_pk_fma_f32 v[252:253], v[100:101], s[16:17], v[246:247]
	v_add_f32_e32 v59, v27, v215
	v_mov_b32_e32 v251, v253
	v_pk_add_f32 v[228:229], v[250:251], v[228:229]
	ds_write2_b64 v208, v[222:223], v[228:229] offset0:8 offset1:10
	v_pk_fma_f32 v[222:223], v[28:29], s[18:19], v[166:167]
	v_pk_fma_f32 v[228:229], v[68:69], s[24:25], v[168:169]
	v_mov_b32_e32 v171, v223
	v_mov_b32_e32 v175, v229
	v_pk_add_f32 v[170:171], v[24:25], v[170:171]
	v_pk_fma_f32 v[250:251], v[88:89], s[30:31], v[162:163]
	v_pk_add_f32 v[170:171], v[174:175], v[170:171]
	v_pk_fma_f32 v[174:175], v[70:71], s[14:15], v[146:147]
	v_pk_fma_f32 v[146:147], v[70:71], s[14:15], v[146:147] neg_lo:[0,0,1] neg_hi:[0,0,1]
	v_mov_b32_e32 v165, v175
	v_pk_add_f32 v[164:165], v[164:165], v[170:171]
	v_pk_fma_f32 v[170:171], v[88:89], s[30:31], v[162:163] neg_lo:[1,0,0] neg_hi:[1,0,0]
	v_mov_b32_e32 v175, v147
	v_pk_fma_f32 v[146:147], v[88:89], s[30:31], v[162:163] neg_lo:[0,0,1] neg_hi:[0,0,1]
	v_add_f32_e32 v58, v26, v213
	v_mov_b32_e32 v171, v251
	v_pk_mul_f32 v[140:141], v[140:141], s[38:39]
	v_mov_b32_e32 v251, v147
	v_mov_b32_e32 v31, v49
	v_add_f32_e32 v49, v33, v73
	v_sub_f32_e32 v48, v33, v73
	v_add_f32_e32 v146, v32, v52
	v_sub_f32_e32 v147, v32, v52
	v_pk_add_f32 v[32:33], v[58:59], v[32:33]
	v_pk_add_f32 v[164:165], v[170:171], v[164:165]
	v_pk_fma_f32 v[170:171], v[94:95], s[16:17], v[140:141] neg_lo:[1,0,0] neg_hi:[1,0,0]
	v_pk_fma_f32 v[254:255], v[94:95], s[16:17], v[140:141]
	v_mov_b32_e32 v37, v47
	v_pk_add_f32 v[32:33], v[32:33], v[34:35]
	v_mov_b32_e32 v171, v255
	v_pk_mul_f32 v[136:137], v[136:137], s[50:51]
	v_pk_fma_f32 v[166:167], v[28:29], s[18:19], v[166:167] neg_lo:[0,0,1] neg_hi:[0,0,1]
	v_pk_add_f32 v[32:33], v[32:33], v[36:37]
	v_pk_add_f32 v[164:165], v[170:171], v[164:165]
	v_pk_fma_f32 v[170:171], v[100:101], s[22:23], v[136:137] neg_lo:[1,0,0] neg_hi:[1,0,0]
	v_pk_fma_f32 v[198:199], v[100:101], s[22:23], v[136:137]
	v_mov_b32_e32 v223, v167
	v_pk_fma_f32 v[166:167], v[68:69], s[24:25], v[168:169] neg_lo:[0,0,1] neg_hi:[0,0,1]
	v_pk_fma_f32 v[136:137], v[100:101], s[22:23], v[136:137] neg_lo:[0,0,1] neg_hi:[0,0,1]
	v_mov_b32_e32 v39, v55
	v_pk_add_f32 v[32:33], v[32:33], v[30:31]
	v_mov_b32_e32 v171, v199
	v_mov_b32_e32 v229, v167
	;; [unrolled: 1-line block ×3, first 2 shown]
	v_pk_add_f32 v[136:137], v[24:25], v[222:223]
	v_pk_add_f32 v[32:33], v[32:33], v[38:39]
	;; [unrolled: 1-line block ×3, first 2 shown]
	v_mov_b32_e32 v43, v63
	v_pk_add_f32 v[32:33], v[32:33], v[40:41]
	v_pk_fma_f32 v[140:141], v[94:95], s[16:17], v[140:141] neg_lo:[0,0,1] neg_hi:[0,0,1]
	v_pk_add_f32 v[136:137], v[174:175], v[136:137]
	v_mov_b32_e32 v45, v67
	v_mov_b32_e32 v57, v75
	v_add_f32_e32 v55, v215, v75
	v_sub_f32_e32 v54, v215, v75
	v_pk_add_f32 v[74:75], v[30:31], v[42:43]
	v_pk_add_f32 v[58:59], v[30:31], v[42:43] neg_lo:[0,1] neg_hi:[0,1]
	v_pk_add_f32 v[30:31], v[32:33], v[42:43]
	v_mov_b32_e32 v255, v141
	v_pk_add_f32 v[136:137], v[250:251], v[136:137]
	v_mov_b32_e32 v51, v65
	v_pk_add_f32 v[30:31], v[30:31], v[44:45]
	v_pk_add_f32 v[136:137], v[254:255], v[136:137]
	v_mov_b32_e32 v53, v73
	v_pk_add_f32 v[30:31], v[30:31], v[50:51]
	v_add_f32_e32 v162, v213, v56
	v_sub_f32_e32 v163, v213, v56
	v_pk_add_f32 v[164:165], v[170:171], v[164:165]
	v_pk_add_f32 v[136:137], v[198:199], v[136:137]
	;; [unrolled: 1-line block ×3, first 2 shown]
	v_pk_mul_f32 v[32:33], v[162:163], s[48:49]
	ds_write2_b64 v208, v[164:165], v[136:137] offset0:12 offset1:14
	v_add_f32_e32 v47, v35, v65
	v_sub_f32_e32 v46, v35, v65
	v_add_f32_e32 v136, v34, v50
	v_sub_f32_e32 v137, v34, v50
	v_pk_add_f32 v[164:165], v[30:31], v[56:57]
	v_pk_fma_f32 v[34:35], v[54:55], s[26:27], v[32:33] neg_lo:[1,0,0] neg_hi:[1,0,0]
	v_pk_fma_f32 v[30:31], v[54:55], s[26:27], v[32:33]
	v_pk_add_f32 v[140:141], v[36:37], v[44:45]
	v_pk_add_f32 v[62:63], v[36:37], v[44:45] neg_lo:[0,1] neg_hi:[0,1]
	v_mov_b32_e32 v35, v31
	v_pk_mul_f32 v[36:37], v[146:147], s[40:41]
	v_pk_add_f32 v[72:73], v[38:39], v[40:41]
	v_pk_add_f32 v[64:65], v[38:39], v[40:41] neg_lo:[0,1] neg_hi:[0,1]
	v_pk_add_f32 v[38:39], v[26:27], v[34:35]
	v_pk_fma_f32 v[40:41], v[48:49], s[12:13], v[36:37] neg_lo:[1,0,0] neg_hi:[1,0,0]
	v_pk_fma_f32 v[34:35], v[48:49], s[12:13], v[36:37]
	v_pk_fma_f32 v[138:139], v[28:29], s[20:21], v[138:139] neg_lo:[0,0,1] neg_hi:[0,0,1]
	v_mov_b32_e32 v41, v35
	v_pk_add_f32 v[42:43], v[40:41], v[38:39]
	v_pk_mul_f32 v[40:41], v[136:137], s[44:45]
	v_pk_fma_f32 v[112:113], v[28:29], s[12:13], v[112:113] neg_lo:[0,0,1] neg_hi:[0,0,1]
	v_pk_fma_f32 v[44:45], v[46:47], s[20:21], v[40:41] neg_lo:[1,0,0] neg_hi:[1,0,0]
	v_pk_fma_f32 v[38:39], v[46:47], s[20:21], v[40:41]
	v_mov_b32_e32 v131, v139
	v_mov_b32_e32 v45, v39
	v_pk_add_f32 v[52:53], v[44:45], v[42:43]
	v_mov_b32_e32 v43, v141
	v_mov_b32_e32 v141, v62
	;; [unrolled: 1-line block ×3, first 2 shown]
	v_pk_mul_f32 v[50:51], v[140:141], s[38:39]
	v_pk_fma_f32 v[134:135], v[68:69], s[18:19], v[134:135] neg_lo:[0,0,1] neg_hi:[0,0,1]
	v_pk_fma_f32 v[56:57], v[42:43], s[16:17], v[50:51] neg_lo:[1,0,0] neg_hi:[1,0,0]
	v_pk_fma_f32 v[44:45], v[42:43], s[16:17], v[50:51]
	v_mov_b32_e32 v107, v113
	v_mov_b32_e32 v57, v45
	v_pk_add_f32 v[62:63], v[56:57], v[52:53]
	v_pk_fma_f32 v[56:57], v[28:29], s[14:15], v[226:227] neg_lo:[0,0,1] neg_hi:[0,0,1]
	v_mov_b32_e32 v52, v59
	v_mov_b32_e32 v231, v57
	v_pk_fma_f32 v[56:57], v[68:69], s[22:23], v[232:233] neg_lo:[0,0,1] neg_hi:[0,0,1]
	v_mov_b32_e32 v53, v75
	v_mov_b32_e32 v237, v57
	;; [unrolled: 3-line block ×3, first 2 shown]
	v_pk_fma_f32 v[56:57], v[88:89], s[34:35], v[238:239] neg_lo:[0,0,1] neg_hi:[0,0,1]
	v_pk_fma_f32 v[112:113], v[68:69], s[16:17], v[116:117] neg_lo:[0,0,1] neg_hi:[0,0,1]
	v_mov_b32_e32 v245, v57
	v_pk_fma_f32 v[56:57], v[94:95], s[24:25], v[242:243] neg_lo:[0,0,1] neg_hi:[0,0,1]
	v_mov_b32_e32 v133, v135
	v_mov_b32_e32 v249, v57
	v_pk_fma_f32 v[56:57], v[100:101], s[16:17], v[246:247] neg_lo:[0,0,1] neg_hi:[0,0,1]
	v_pk_fma_f32 v[134:135], v[70:71], s[36:37], v[154:155] neg_lo:[0,0,1] neg_hi:[0,0,1]
	v_mov_b32_e32 v253, v57
	v_pk_add_f32 v[56:57], v[24:25], v[230:231]
	v_pk_add_f32 v[130:131], v[24:25], v[130:131]
	;; [unrolled: 1-line block ×3, first 2 shown]
	v_mov_b32_e32 v109, v113
	v_pk_add_f32 v[56:57], v[240:241], v[56:57]
	v_pk_fma_f32 v[112:113], v[70:71], s[18:19], v[118:119] neg_lo:[0,0,1] neg_hi:[0,0,1]
	v_pk_add_f32 v[56:57], v[244:245], v[56:57]
	v_pk_add_f32 v[106:107], v[24:25], v[106:107]
	;; [unrolled: 1-line block ×3, first 2 shown]
	v_mov_b32_e32 v143, v135
	v_pk_add_f32 v[58:59], v[252:253], v[56:57]
	v_pk_fma_f32 v[56:57], v[28:29], s[16:17], v[180:181] neg_lo:[0,0,1] neg_hi:[0,0,1]
	v_pk_fma_f32 v[28:29], v[28:29], s[26:27], v[78:79] neg_lo:[0,0,1] neg_hi:[0,0,1]
	v_mov_b32_e32 v177, v57
	v_pk_fma_f32 v[56:57], v[68:69], s[28:29], v[182:183] neg_lo:[0,0,1] neg_hi:[0,0,1]
	v_mov_b32_e32 v77, v29
	v_mov_b32_e32 v179, v57
	v_pk_fma_f32 v[56:57], v[70:71], s[24:25], v[188:189] neg_lo:[0,0,1] neg_hi:[0,0,1]
	v_pk_fma_f32 v[28:29], v[68:69], s[12:13], v[82:83] neg_lo:[0,0,1] neg_hi:[0,0,1]
	v_mov_b32_e32 v185, v57
	v_pk_fma_f32 v[56:57], v[88:89], s[20:21], v[192:193] neg_lo:[0,0,1] neg_hi:[0,0,1]
	v_mov_b32_e32 v81, v29
	v_mov_b32_e32 v187, v57
	v_pk_fma_f32 v[56:57], v[94:95], s[34:35], v[194:195] neg_lo:[0,0,1] neg_hi:[0,0,1]
	v_pk_fma_f32 v[28:29], v[70:71], s[20:21], v[86:87] neg_lo:[0,0,1] neg_hi:[0,0,1]
	v_mov_b32_e32 v191, v57
	v_pk_fma_f32 v[56:57], v[100:101], s[30:31], v[224:225] neg_lo:[0,0,1] neg_hi:[0,0,1]
	v_pk_fma_f32 v[134:135], v[88:89], s[24:25], v[156:157] neg_lo:[0,0,1] neg_hi:[0,0,1]
	v_mov_b32_e32 v197, v57
	v_pk_add_f32 v[56:57], v[24:25], v[176:177]
	v_pk_add_f32 v[24:25], v[24:25], v[76:77]
	;; [unrolled: 1-line block ×5, first 2 shown]
	v_mov_b32_e32 v111, v113
	v_pk_add_f32 v[56:57], v[186:187], v[56:57]
	v_pk_fma_f32 v[112:113], v[88:89], s[28:29], v[122:123] neg_lo:[0,0,1] neg_hi:[0,0,1]
	v_pk_add_f32 v[56:57], v[190:191], v[56:57]
	v_pk_add_f32 v[106:107], v[108:109], v[106:107]
	;; [unrolled: 1-line block ×3, first 2 shown]
	v_pk_mul_f32 v[56:57], v[74:75], s[42:43]
	ds_write2_b64 v208, v[58:59], v[66:67] offset0:16 offset1:18
	v_pk_fma_f32 v[66:67], v[52:53], s[14:15], v[56:57] neg_lo:[1,0,0] neg_hi:[1,0,0]
	v_pk_fma_f32 v[58:59], v[52:53], s[14:15], v[56:57]
	v_pk_add_f32 v[24:25], v[80:81], v[24:25]
	v_mov_b32_e32 v67, v59
	v_mov_b32_e32 v85, v29
	v_pk_fma_f32 v[28:29], v[88:89], s[16:17], v[92:93] neg_lo:[0,0,1] neg_hi:[0,0,1]
	v_pk_add_f32 v[166:167], v[66:67], v[62:63]
	v_mov_b32_e32 v63, v73
	v_mov_b32_e32 v73, v64
	;; [unrolled: 1-line block ×3, first 2 shown]
	v_pk_fma_f32 v[134:135], v[94:95], s[12:13], v[160:161] neg_lo:[0,0,1] neg_hi:[0,0,1]
	v_pk_add_f32 v[130:131], v[142:143], v[130:131]
	v_mov_b32_e32 v115, v113
	v_pk_fma_f32 v[112:113], v[94:95], s[22:23], v[124:125] neg_lo:[0,0,1] neg_hi:[0,0,1]
	v_pk_add_f32 v[106:107], v[110:111], v[106:107]
	v_pk_add_f32 v[24:25], v[84:85], v[24:25]
	v_mov_b32_e32 v91, v29
	v_pk_fma_f32 v[28:29], v[94:95], s[14:15], v[98:99] neg_lo:[0,0,1] neg_hi:[0,0,1]
	v_mov_b32_e32 v62, v65
	v_pk_mul_f32 v[66:67], v[72:73], s[46:47]
	v_lshrrev_b32_e32 v3, 1, v60
	v_mov_b32_e32 v151, v135
	v_pk_fma_f32 v[134:135], v[100:101], s[14:15], v[158:159] neg_lo:[0,0,1] neg_hi:[0,0,1]
	v_pk_add_f32 v[130:131], v[144:145], v[130:131]
	v_mov_b32_e32 v121, v113
	v_pk_fma_f32 v[112:113], v[100:101], s[24:25], v[128:129] neg_lo:[0,0,1] neg_hi:[0,0,1]
	v_pk_add_f32 v[106:107], v[114:115], v[106:107]
	v_pk_add_f32 v[24:25], v[90:91], v[24:25]
	v_mov_b32_e32 v97, v29
	v_pk_fma_f32 v[28:29], v[100:101], s[18:19], v[104:105] neg_lo:[0,0,1] neg_hi:[0,0,1]
	v_pk_fma_f32 v[168:169], v[62:63], s[18:19], v[66:67] neg_lo:[1,0,0] neg_hi:[1,0,0]
	v_pk_fma_f32 v[64:65], v[62:63], s[18:19], v[66:67]
	v_mul_u32_u24_e32 v3, 26, v3
	v_mov_b32_e32 v153, v135
	v_pk_add_f32 v[130:131], v[150:151], v[130:131]
	v_mov_b32_e32 v127, v113
	v_pk_add_f32 v[106:107], v[120:121], v[106:107]
	v_pk_add_f32 v[24:25], v[96:97], v[24:25]
	v_mov_b32_e32 v103, v29
	v_mov_b32_e32 v169, v65
	v_or_b32_e32 v3, v3, v201
	v_pk_add_f32 v[130:131], v[152:153], v[130:131]
	v_pk_add_f32 v[106:107], v[126:127], v[106:107]
	;; [unrolled: 1-line block ×3, first 2 shown]
	v_pk_mul_f32 v[76:77], v[162:163], s[40:41]
	v_pk_add_f32 v[166:167], v[168:169], v[166:167]
	v_lshlrev_b32_e32 v3, 3, v3
	ds_write2_b64 v208, v[130:131], v[106:107] offset0:20 offset1:22
	ds_write_b64 v208, v[24:25] offset:192
	ds_write2_b64 v3, v[164:165], v[166:167] offset1:2
	v_pk_fma_f32 v[92:93], v[54:55], s[12:13], v[76:77] neg_lo:[1,0,0] neg_hi:[1,0,0]
	v_pk_fma_f32 v[24:25], v[54:55], s[12:13], v[76:77]
	v_pk_mul_f32 v[80:81], v[146:147], s[38:39]
	v_mov_b32_e32 v93, v25
	v_pk_fma_f32 v[94:95], v[48:49], s[16:17], v[80:81] neg_lo:[1,0,0] neg_hi:[1,0,0]
	v_pk_fma_f32 v[28:29], v[48:49], s[16:17], v[80:81]
	v_pk_mul_f32 v[82:83], v[136:137], s[46:47]
	v_mov_b32_e32 v95, v29
	v_pk_fma_f32 v[96:97], v[46:47], s[18:19], v[82:83] neg_lo:[1,0,0] neg_hi:[1,0,0]
	v_pk_fma_f32 v[68:69], v[46:47], s[18:19], v[82:83]
	v_pk_mul_f32 v[86:87], v[140:141], s[54:55]
	v_pk_add_f32 v[92:93], v[26:27], v[92:93]
	v_mov_b32_e32 v97, v69
	v_pk_fma_f32 v[98:99], v[42:43], s[28:29], v[86:87] neg_lo:[1,0,0] neg_hi:[1,0,0]
	v_pk_fma_f32 v[70:71], v[42:43], s[28:29], v[86:87]
	v_pk_mul_f32 v[88:89], v[74:75], s[50:51]
	v_pk_add_f32 v[92:93], v[94:95], v[92:93]
	;; [unrolled: 5-line block ×3, first 2 shown]
	v_mov_b32_e32 v101, v79
	v_pk_fma_f32 v[102:103], v[62:63], s[24:25], v[90:91] neg_lo:[1,0,0] neg_hi:[1,0,0]
	v_pk_fma_f32 v[84:85], v[62:63], s[24:25], v[90:91]
	v_pk_add_f32 v[92:93], v[98:99], v[92:93]
	v_mov_b32_e32 v103, v85
	v_pk_add_f32 v[92:93], v[100:101], v[92:93]
	v_pk_mul_f32 v[100:101], v[162:163], s[44:45]
	v_pk_add_f32 v[106:107], v[102:103], v[92:93]
	v_pk_fma_f32 v[108:109], v[54:55], s[20:21], v[100:101] neg_lo:[1,0,0] neg_hi:[1,0,0]
	v_pk_fma_f32 v[92:93], v[54:55], s[20:21], v[100:101]
	v_pk_mul_f32 v[104:105], v[146:147], s[46:47]
	v_mov_b32_e32 v109, v93
	v_pk_fma_f32 v[110:111], v[48:49], s[18:19], v[104:105] neg_lo:[1,0,0] neg_hi:[1,0,0]
	v_pk_fma_f32 v[94:95], v[48:49], s[18:19], v[104:105]
	v_pk_mul_f32 v[112:113], v[136:137], s[2:3]
	v_mov_b32_e32 v111, v95
	v_pk_fma_f32 v[114:115], v[46:47], s[36:37], v[112:113] neg_lo:[1,0,0] neg_hi:[1,0,0]
	v_pk_fma_f32 v[96:97], v[46:47], s[36:37], v[112:113]
	v_pk_mul_f32 v[116:117], v[140:141], s[52:53]
	v_pk_add_f32 v[108:109], v[26:27], v[108:109]
	v_mov_b32_e32 v115, v97
	v_pk_fma_f32 v[118:119], v[42:43], s[24:25], v[116:117] neg_lo:[1,0,0] neg_hi:[1,0,0]
	v_pk_fma_f32 v[98:99], v[42:43], s[24:25], v[116:117]
	v_pk_mul_f32 v[120:121], v[74:75], s[40:41]
	v_pk_add_f32 v[108:109], v[110:111], v[108:109]
	;; [unrolled: 5-line block ×3, first 2 shown]
	v_mov_b32_e32 v123, v103
	v_pk_fma_f32 v[126:127], v[62:63], s[14:15], v[124:125] neg_lo:[1,0,0] neg_hi:[1,0,0]
	v_pk_fma_f32 v[128:129], v[62:63], s[14:15], v[124:125]
	v_pk_add_f32 v[108:109], v[118:119], v[108:109]
	v_mov_b32_e32 v127, v129
	v_pk_add_f32 v[108:109], v[122:123], v[108:109]
	v_pk_mul_f32 v[114:115], v[146:147], s[54:55]
	v_pk_add_f32 v[108:109], v[126:127], v[108:109]
	ds_write2_b64 v3, v[106:107], v[108:109] offset0:4 offset1:6
	v_pk_mul_f32 v[106:107], v[162:163], s[38:39]
	v_pk_fma_f32 v[118:119], v[48:49], s[28:29], v[114:115] neg_lo:[1,0,0] neg_hi:[1,0,0]
	v_pk_fma_f32 v[108:109], v[54:55], s[16:17], v[106:107] neg_lo:[1,0,0] neg_hi:[1,0,0]
	v_pk_fma_f32 v[110:111], v[54:55], s[16:17], v[106:107]
	v_pk_fma_f32 v[122:123], v[48:49], s[28:29], v[114:115]
	v_mov_b32_e32 v109, v111
	v_pk_mul_f32 v[126:127], v[136:137], s[52:53]
	v_mov_b32_e32 v119, v123
	v_pk_fma_f32 v[130:131], v[46:47], s[24:25], v[126:127] neg_lo:[1,0,0] neg_hi:[1,0,0]
	v_pk_fma_f32 v[132:133], v[46:47], s[24:25], v[126:127]
	v_pk_mul_f32 v[134:135], v[140:141], s[44:45]
	v_pk_add_f32 v[108:109], v[26:27], v[108:109]
	v_mov_b32_e32 v131, v133
	v_pk_fma_f32 v[138:139], v[42:43], s[20:21], v[134:135] neg_lo:[1,0,0] neg_hi:[1,0,0]
	v_pk_fma_f32 v[142:143], v[42:43], s[20:21], v[134:135]
	v_pk_mul_f32 v[144:145], v[74:75], s[58:59]
	v_pk_add_f32 v[108:109], v[118:119], v[108:109]
	;; [unrolled: 5-line block ×3, first 2 shown]
	v_mov_b32_e32 v151, v153
	v_pk_fma_f32 v[156:157], v[62:63], s[30:31], v[154:155] neg_lo:[1,0,0] neg_hi:[1,0,0]
	v_pk_fma_f32 v[158:159], v[62:63], s[30:31], v[154:155]
	v_pk_add_f32 v[108:109], v[138:139], v[108:109]
	v_pk_mul_f32 v[118:119], v[162:163], s[42:43]
	v_mov_b32_e32 v157, v159
	v_pk_add_f32 v[108:109], v[150:151], v[108:109]
	v_pk_fma_f32 v[130:131], v[54:55], s[14:15], v[118:119] neg_lo:[1,0,0] neg_hi:[1,0,0]
	v_pk_fma_f32 v[138:139], v[54:55], s[14:15], v[118:119]
	v_pk_mul_f32 v[150:151], v[146:147], s[50:51]
	v_pk_add_f32 v[108:109], v[156:157], v[108:109]
	v_mov_b32_e32 v131, v139
	v_pk_fma_f32 v[156:157], v[48:49], s[22:23], v[150:151] neg_lo:[1,0,0] neg_hi:[1,0,0]
	v_pk_fma_f32 v[160:161], v[48:49], s[22:23], v[150:151]
	v_pk_add_f32 v[130:131], v[26:27], v[130:131]
	v_mov_b32_e32 v157, v161
	v_pk_add_f32 v[130:131], v[156:157], v[130:131]
	v_pk_mul_f32 v[156:157], v[136:137], s[40:41]
	v_pk_mul_f32 v[146:147], v[146:147], s[52:53]
	v_pk_fma_f32 v[164:165], v[46:47], s[12:13], v[156:157] neg_lo:[1,0,0] neg_hi:[1,0,0]
	v_pk_fma_f32 v[166:167], v[46:47], s[12:13], v[156:157]
	v_pk_fma_f32 v[182:183], v[48:49], s[24:25], v[146:147]
	v_mov_b32_e32 v165, v167
	v_pk_add_f32 v[130:131], v[164:165], v[130:131]
	v_pk_mul_f32 v[164:165], v[140:141], s[58:59]
	v_pk_mul_f32 v[136:137], v[136:137], s[42:43]
	v_pk_fma_f32 v[168:169], v[42:43], s[34:35], v[164:165] neg_lo:[1,0,0] neg_hi:[1,0,0]
	v_pk_fma_f32 v[170:171], v[42:43], s[34:35], v[164:165]
	v_pk_fma_f32 v[184:185], v[46:47], s[14:15], v[136:137]
	;; [unrolled: 7-line block ×4, first 2 shown]
	v_mov_b32_e32 v179, v181
	v_pk_add_f32 v[130:131], v[178:179], v[130:131]
	ds_write2_b64 v3, v[108:109], v[130:131] offset0:8 offset1:10
	v_pk_mul_f32 v[108:109], v[162:163], s[46:47]
	v_pk_fma_f32 v[178:179], v[48:49], s[24:25], v[146:147] neg_lo:[1,0,0] neg_hi:[1,0,0]
	v_pk_fma_f32 v[130:131], v[54:55], s[18:19], v[108:109] neg_lo:[1,0,0] neg_hi:[1,0,0]
	v_pk_fma_f32 v[162:163], v[54:55], s[18:19], v[108:109]
	v_mov_b32_e32 v179, v183
	v_mov_b32_e32 v131, v163
	v_pk_add_f32 v[130:131], v[26:27], v[130:131]
	v_pk_mul_f32 v[72:73], v[72:73], s[50:51]
	v_pk_add_f32 v[130:131], v[178:179], v[130:131]
	v_pk_fma_f32 v[178:179], v[46:47], s[14:15], v[136:137] neg_lo:[1,0,0] neg_hi:[1,0,0]
	v_pk_fma_f32 v[108:109], v[54:55], s[18:19], v[108:109] neg_lo:[0,0,1] neg_hi:[0,0,1]
	v_mov_b32_e32 v179, v185
	v_pk_add_f32 v[130:131], v[178:179], v[130:131]
	v_pk_fma_f32 v[178:179], v[42:43], s[30:31], v[140:141] neg_lo:[1,0,0] neg_hi:[1,0,0]
	v_pk_fma_f32 v[190:191], v[62:63], s[22:23], v[72:73]
	v_mov_b32_e32 v179, v187
	v_pk_add_f32 v[130:131], v[178:179], v[130:131]
	v_pk_fma_f32 v[178:179], v[52:53], s[16:17], v[74:75] neg_lo:[1,0,0] neg_hi:[1,0,0]
	v_mov_b32_e32 v163, v109
	v_mov_b32_e32 v179, v189
	v_pk_add_f32 v[130:131], v[178:179], v[130:131]
	v_pk_fma_f32 v[178:179], v[62:63], s[22:23], v[72:73] neg_lo:[1,0,0] neg_hi:[1,0,0]
	v_pk_fma_f32 v[108:109], v[48:49], s[24:25], v[146:147] neg_lo:[0,0,1] neg_hi:[0,0,1]
	;; [unrolled: 1-line block ×3, first 2 shown]
	v_mov_b32_e32 v179, v191
	v_mov_b32_e32 v183, v109
	v_pk_fma_f32 v[108:109], v[46:47], s[14:15], v[136:137] neg_lo:[0,0,1] neg_hi:[0,0,1]
	v_mov_b32_e32 v191, v73
	v_pk_add_f32 v[72:73], v[26:27], v[162:163]
	v_mov_b32_e32 v185, v109
	v_pk_fma_f32 v[108:109], v[42:43], s[30:31], v[140:141] neg_lo:[0,0,1] neg_hi:[0,0,1]
	v_pk_add_f32 v[72:73], v[182:183], v[72:73]
	v_mov_b32_e32 v187, v109
	v_pk_fma_f32 v[74:75], v[52:53], s[16:17], v[74:75] neg_lo:[0,0,1] neg_hi:[0,0,1]
	v_pk_add_f32 v[72:73], v[184:185], v[72:73]
	v_mov_b32_e32 v189, v75
	v_pk_add_f32 v[72:73], v[186:187], v[72:73]
	v_pk_add_f32 v[130:131], v[178:179], v[130:131]
	;; [unrolled: 1-line block ×3, first 2 shown]
	v_pk_fma_f32 v[74:75], v[54:55], s[16:17], v[106:107] neg_lo:[0,0,1] neg_hi:[0,0,1]
	v_pk_add_f32 v[72:73], v[190:191], v[72:73]
	ds_write2_b64 v3, v[130:131], v[72:73] offset0:12 offset1:14
	v_pk_fma_f32 v[72:73], v[54:55], s[14:15], v[118:119] neg_lo:[0,0,1] neg_hi:[0,0,1]
	v_mov_b32_e32 v111, v75
	v_mov_b32_e32 v139, v73
	v_pk_fma_f32 v[72:73], v[48:49], s[22:23], v[150:151] neg_lo:[0,0,1] neg_hi:[0,0,1]
	v_pk_fma_f32 v[74:75], v[48:49], s[28:29], v[114:115] neg_lo:[0,0,1] neg_hi:[0,0,1]
	v_mov_b32_e32 v161, v73
	v_pk_fma_f32 v[72:73], v[46:47], s[12:13], v[156:157] neg_lo:[0,0,1] neg_hi:[0,0,1]
	v_mov_b32_e32 v123, v75
	;; [unrolled: 2-line block ×9, first 2 shown]
	v_pk_add_f32 v[72:73], v[26:27], v[138:139]
	v_mov_b32_e32 v159, v75
	v_pk_add_f32 v[74:75], v[26:27], v[110:111]
	v_pk_add_f32 v[72:73], v[160:161], v[72:73]
	;; [unrolled: 1-line block ×11, first 2 shown]
	ds_write2_b64 v3, v[72:73], v[74:75] offset0:16 offset1:18
	v_pk_fma_f32 v[72:73], v[54:55], s[20:21], v[100:101] neg_lo:[0,0,1] neg_hi:[0,0,1]
	v_pk_fma_f32 v[74:75], v[54:55], s[12:13], v[76:77] neg_lo:[0,0,1] neg_hi:[0,0,1]
	v_mov_b32_e32 v93, v73
	v_pk_fma_f32 v[72:73], v[48:49], s[18:19], v[104:105] neg_lo:[0,0,1] neg_hi:[0,0,1]
	v_mov_b32_e32 v25, v75
	v_mov_b32_e32 v95, v73
	v_pk_fma_f32 v[72:73], v[46:47], s[36:37], v[112:113] neg_lo:[0,0,1] neg_hi:[0,0,1]
	v_pk_fma_f32 v[74:75], v[48:49], s[16:17], v[80:81] neg_lo:[0,0,1] neg_hi:[0,0,1]
	v_mov_b32_e32 v97, v73
	v_pk_fma_f32 v[72:73], v[42:43], s[24:25], v[116:117] neg_lo:[0,0,1] neg_hi:[0,0,1]
	v_mov_b32_e32 v29, v75
	v_mov_b32_e32 v99, v73
	v_pk_fma_f32 v[72:73], v[52:53], s[12:13], v[120:121] neg_lo:[0,0,1] neg_hi:[0,0,1]
	v_pk_fma_f32 v[74:75], v[46:47], s[18:19], v[82:83] neg_lo:[0,0,1] neg_hi:[0,0,1]
	v_mov_b32_e32 v103, v73
	v_pk_fma_f32 v[72:73], v[62:63], s[14:15], v[124:125] neg_lo:[0,0,1] neg_hi:[0,0,1]
	v_pk_add_f32 v[24:25], v[26:27], v[24:25]
	v_mov_b32_e32 v129, v73
	v_pk_add_f32 v[72:73], v[26:27], v[92:93]
	v_mov_b32_e32 v69, v75
	v_pk_add_f32 v[72:73], v[94:95], v[72:73]
	v_pk_fma_f32 v[74:75], v[42:43], s[28:29], v[86:87] neg_lo:[0,0,1] neg_hi:[0,0,1]
	v_pk_add_f32 v[24:25], v[28:29], v[24:25]
	v_pk_add_f32 v[72:73], v[96:97], v[72:73]
	v_mov_b32_e32 v71, v75
	v_pk_fma_f32 v[74:75], v[52:53], s[22:23], v[88:89] neg_lo:[0,0,1] neg_hi:[0,0,1]
	v_pk_add_f32 v[24:25], v[68:69], v[24:25]
	v_pk_add_f32 v[72:73], v[98:99], v[72:73]
	v_mov_b32_e32 v79, v75
	;; [unrolled: 4-line block ×3, first 2 shown]
	v_pk_add_f32 v[24:25], v[78:79], v[24:25]
	v_pk_add_f32 v[72:73], v[128:129], v[72:73]
	;; [unrolled: 1-line block ×3, first 2 shown]
	ds_write2_b64 v3, v[72:73], v[24:25] offset0:20 offset1:22
	v_pk_fma_f32 v[24:25], v[54:55], s[26:27], v[32:33] neg_lo:[0,0,1] neg_hi:[0,0,1]
	v_lshl_add_u64 v[74:75], v[172:173], 0, s[60:61]
	v_mov_b32_e32 v31, v25
	v_pk_add_f32 v[24:25], v[26:27], v[30:31]
	v_pk_fma_f32 v[26:27], v[48:49], s[12:13], v[36:37] neg_lo:[0,0,1] neg_hi:[0,0,1]
	v_cndmask_b32_e32 v11, v74, v172, vcc
	v_mov_b32_e32 v35, v27
	v_pk_fma_f32 v[26:27], v[46:47], s[20:21], v[40:41] neg_lo:[0,0,1] neg_hi:[0,0,1]
	v_pk_add_f32 v[24:25], v[34:35], v[24:25]
	v_mov_b32_e32 v39, v27
	v_pk_fma_f32 v[26:27], v[42:43], s[16:17], v[50:51] neg_lo:[0,0,1] neg_hi:[0,0,1]
	v_pk_add_f32 v[24:25], v[38:39], v[24:25]
	;; [unrolled: 3-line block ×4, first 2 shown]
	v_mov_b32_e32 v65, v27
	v_pk_add_f32 v[24:25], v[64:65], v[24:25]
	ds_write_b64 v3, v[24:25] offset:192
	v_mul_hi_i32_i24_e32 v25, 0x60, v11
	v_mul_i32_i24_e32 v24, 0x60, v11
	v_lshl_add_u64 v[44:45], s[10:11], 0, v[24:25]
	s_waitcnt lgkmcnt(0)
	; wave barrier
	s_waitcnt lgkmcnt(0)
	global_load_dwordx4 v[24:27], v[44:45], off offset:240
	global_load_dwordx4 v[80:83], v[44:45], off offset:224
	global_load_dwordx4 v[34:37], v[44:45], off offset:208
	global_load_dwordx4 v[28:31], v[44:45], off offset:192
	global_load_dwordx4 v[40:43], v[44:45], off offset:272
	global_load_dwordx4 v[84:87], v[44:45], off offset:256
	ds_read2_b64 v[62:65], v207 offset0:160 offset1:212
	ds_read2_b64 v[48:51], v148 offset0:104 offset1:156
	;; [unrolled: 1-line block ×6, first 2 shown]
	v_accvgpr_write_b32 a7, v3
	v_mul_lo_u16_sdwa v3, v60, s33 dst_sel:DWORD dst_unused:UNUSED_PAD src0_sel:BYTE_0 src1_sel:DWORD
	ds_read2_b64 v[110:113], v211 offset0:8 offset1:60
	ds_read2_b64 v[106:109], v211 offset0:112 offset1:164
	;; [unrolled: 1-line block ×6, first 2 shown]
	v_accvgpr_write_b32 a58, v15
	s_movk_i32 s33, 0x60
	v_accvgpr_write_b32 a24, v19
	s_waitcnt vmcnt(5)
	v_mov_b64_e32 v[46:47], v[26:27]
	s_waitcnt vmcnt(4)
	v_mov_b32_e32 v32, v80
	s_waitcnt vmcnt(3) lgkmcnt(8)
	v_pk_mul_f32 v[78:79], v[66:67], v[34:35]
	s_waitcnt vmcnt(2)
	v_pk_mul_f32 v[76:77], v[48:49], v[28:29]
	v_mov_b32_e32 v12, v29
	v_mov_b32_e32 v8, v77
	v_pk_fma_f32 v[122:123], v[48:49], v[28:29], v[8:9] neg_lo:[0,0,1] neg_hi:[0,0,1]
	v_mov_b32_e32 v8, v49
	v_pk_mul_f32 v[48:49], v[48:49], v[12:13]
	v_mov_b32_e32 v12, v31
	v_pk_fma_f32 v[76:77], v[8:9], v[28:29], v[48:49]
	v_pk_mul_f32 v[48:49], v[70:71], v[30:31]
	v_mov_b32_e32 v90, v37
	v_mov_b32_e32 v8, v49
	v_pk_fma_f32 v[48:49], v[70:71], v[30:31], v[8:9] neg_lo:[0,0,1] neg_hi:[0,0,1]
	v_mov_b32_e32 v8, v71
	v_pk_mul_f32 v[70:71], v[70:71], v[12:13]
	v_mov_b32_e32 v12, v35
	v_pk_fma_f32 v[70:71], v[8:9], v[30:31], v[70:71]
	v_mov_b32_e32 v8, v79
	v_pk_fma_f32 v[124:125], v[66:67], v[34:35], v[8:9] neg_lo:[0,0,1] neg_hi:[0,0,1]
	v_mov_b32_e32 v8, v67
	v_pk_mul_f32 v[66:67], v[66:67], v[12:13]
	v_mov_b64_e32 v[44:45], v[24:25]
	v_pk_fma_f32 v[66:67], v[8:9], v[34:35], v[66:67]
	v_lshrrev_b16_e32 v8, 11, v3
	v_mul_lo_u16_e32 v3, 26, v8
	v_sub_u16_e32 v12, v60, v3
	v_pk_mul_f32 v[60:61], v[62:63], v[90:91] op_sel_hi:[1,0]
	v_mov_b32_e32 v26, v83
	v_pk_fma_f32 v[132:133], v[62:63], v[36:37], v[60:61] op_sel:[0,0,1] op_sel_hi:[1,1,0] neg_lo:[0,0,1] neg_hi:[0,0,1]
	v_pk_fma_f32 v[60:61], v[62:63], v[36:37], v[60:61] op_sel:[0,0,1] op_sel_hi:[1,0,0]
	v_mov_b32_e32 v38, v44
	v_mov_b32_e32 v133, v61
	s_waitcnt lgkmcnt(5)
	v_pk_mul_f32 v[60:61], v[110:111], v[80:81] op_sel:[0,1]
	v_mov_b32_e32 v24, v47
	v_pk_fma_f32 v[134:135], v[110:111], v[32:33], v[60:61] op_sel:[0,0,1] op_sel_hi:[1,1,0] neg_lo:[0,0,1] neg_hi:[0,0,1]
	v_pk_fma_f32 v[60:61], v[110:111], v[80:81], v[60:61] op_sel:[0,0,1] op_sel_hi:[1,0,0]
	s_waitcnt vmcnt(1)
	v_mov_b32_e32 v20, v43
	v_mov_b32_e32 v135, v61
	s_waitcnt lgkmcnt(4)
	v_pk_mul_f32 v[60:61], v[106:107], v[26:27] op_sel_hi:[1,0]
	s_waitcnt vmcnt(0)
	v_mov_b32_e32 v78, v87
	v_pk_fma_f32 v[138:139], v[106:107], v[82:83], v[60:61] op_sel:[0,0,1] op_sel_hi:[1,1,0] neg_lo:[0,0,1] neg_hi:[0,0,1]
	v_pk_fma_f32 v[60:61], v[106:107], v[82:83], v[60:61] op_sel:[0,0,1] op_sel_hi:[1,0,0]
	v_mov_b32_e32 v88, v84
	v_mov_b32_e32 v139, v61
	s_waitcnt lgkmcnt(3)
	v_pk_mul_f32 v[60:61], v[102:103], v[44:45] op_sel:[0,1]
	s_waitcnt lgkmcnt(0)
	v_pk_mul_f32 v[62:63], v[114:115], v[40:41] op_sel:[0,1]
	v_pk_fma_f32 v[140:141], v[102:103], v[38:39], v[60:61] op_sel:[0,0,1] op_sel_hi:[1,1,0] neg_lo:[0,0,1] neg_hi:[0,0,1]
	v_pk_fma_f32 v[60:61], v[102:103], v[44:45], v[60:61] op_sel:[0,0,1] op_sel_hi:[1,0,0]
	v_pk_fma_f32 v[168:169], v[114:115], v[40:41], v[62:63] op_sel:[0,0,1] op_sel_hi:[1,0,0]
	v_mov_b32_e32 v141, v61
	v_pk_mul_f32 v[60:61], v[98:99], v[24:25] op_sel_hi:[1,0]
	v_accvgpr_write_b32 a63, v81
	v_pk_fma_f32 v[144:145], v[98:99], v[46:47], v[60:61] op_sel:[0,0,1] op_sel_hi:[1,1,0] neg_lo:[0,0,1] neg_hi:[0,0,1]
	v_pk_fma_f32 v[60:61], v[98:99], v[46:47], v[60:61] op_sel:[0,0,1] op_sel_hi:[1,0,0]
	v_mov_b32_e32 v15, v70
	v_mov_b32_e32 v145, v61
	v_pk_mul_f32 v[60:61], v[56:57], v[84:85] op_sel:[0,1]
	v_accvgpr_write_b32 a70, v83
	v_pk_fma_f32 v[146:147], v[56:57], v[88:89], v[60:61] op_sel:[0,0,1] op_sel_hi:[1,1,0] neg_lo:[0,0,1] neg_hi:[0,0,1]
	v_pk_fma_f32 v[56:57], v[56:57], v[84:85], v[60:61] op_sel:[0,0,1] op_sel_hi:[1,0,0]
	v_pk_mul_f32 v[60:61], v[118:119], v[78:79] op_sel_hi:[1,0]
	v_pk_mul_f32 v[78:79], v[52:53], v[20:21] op_sel_hi:[1,0]
	v_pk_fma_f32 v[152:153], v[118:119], v[86:87], v[60:61] op_sel:[0,0,1] op_sel_hi:[1,0,0] neg_lo:[0,0,1] neg_hi:[0,0,1]
	v_pk_fma_f32 v[150:151], v[52:53], v[42:43], v[78:79] op_sel:[0,0,1] op_sel_hi:[1,0,0]
	v_pk_fma_f32 v[158:159], v[52:53], v[42:43], v[78:79] op_sel:[0,0,1] op_sel_hi:[1,0,0] neg_lo:[0,0,1] neg_hi:[0,0,1]
	v_mov_b32_e32 v20, v151
	v_pk_add_f32 v[154:155], v[76:77], v[20:21] neg_lo:[0,1] neg_hi:[0,1]
	v_mov_b32_e32 v20, v169
	v_pk_fma_f32 v[174:175], v[118:119], v[86:87], v[60:61] op_sel:[0,0,1] op_sel_hi:[1,0,0]
	v_accvgpr_write_b32 a64, v82
	v_mov_b32_e32 v147, v57
	v_pk_fma_f32 v[156:157], v[114:115], v[40:41], v[62:63] op_sel:[0,0,1] op_sel_hi:[1,0,0] neg_lo:[0,0,1] neg_hi:[0,0,1]
	v_pk_add_f32 v[126:127], v[122:123], v[158:159]
	v_pk_add_f32 v[56:57], v[122:123], v[158:159] neg_lo:[0,1] neg_hi:[0,1]
	v_pk_add_f32 v[110:111], v[124:125], v[152:153]
	v_pk_add_f32 v[82:83], v[124:125], v[152:153] neg_lo:[0,1] neg_hi:[0,1]
	;; [unrolled: 2-line block ×3, first 2 shown]
	v_mov_b32_e32 v15, v66
	v_mov_b32_e32 v20, v175
	v_accvgpr_write_b32 a62, v80
	v_pk_add_f32 v[128:129], v[48:49], v[156:157]
	v_pk_add_f32 v[80:81], v[48:49], v[156:157] neg_lo:[0,1] neg_hi:[0,1]
	v_mov_b32_e32 v127, v56
	v_pk_add_f32 v[130:131], v[132:133], v[146:147]
	v_pk_add_f32 v[56:57], v[132:133], v[146:147] neg_lo:[0,1] neg_hi:[0,1]
	v_mov_b32_e32 v111, v82
	;; [unrolled: 3-line block ×3, first 2 shown]
	v_mov_b32_e32 v106, v57
	v_mov_b32_e32 v107, v131
	;; [unrolled: 1-line block ×3, first 2 shown]
	v_pk_add_f32 v[136:137], v[134:135], v[144:145]
	v_pk_add_f32 v[56:57], v[134:135], v[144:145] neg_lo:[0,1] neg_hi:[0,1]
	v_pk_add_f32 v[142:143], v[138:139], v[140:141]
	v_pk_add_f32 v[80:81], v[138:139], v[140:141] neg_lo:[0,1] neg_hi:[0,1]
	v_mov_b32_e32 v114, v118
	v_pk_mul_f32 v[60:61], v[110:111], s[2:3]
	v_mov_b32_e32 v102, v57
	v_mov_b32_e32 v103, v137
	;; [unrolled: 1-line block ×6, first 2 shown]
	v_pk_fma_f32 v[176:177], v[118:119], s[36:37], v[60:61] neg_lo:[1,0,0] neg_hi:[1,0,0]
	v_pk_fma_f32 v[80:81], v[114:115], s[36:37], v[60:61]
	v_pk_fma_f32 v[60:61], v[114:115], s[36:37], v[60:61] neg_lo:[0,0,1] neg_hi:[0,0,1]
	v_mov_b32_e32 v177, v81
	v_mov_b32_e32 v81, v61
	v_pk_mul_f32 v[60:61], v[130:131], s[52:53]
	v_mov_b32_e32 v3, v76
	v_pk_fma_f32 v[178:179], v[106:107], s[24:25], v[60:61] neg_lo:[1,0,0] neg_hi:[1,0,0]
	v_pk_fma_f32 v[82:83], v[106:107], s[24:25], v[60:61]
	v_pk_fma_f32 v[60:61], v[106:107], s[24:25], v[60:61] neg_lo:[0,0,1] neg_hi:[0,0,1]
	v_pk_add_f32 v[52:53], v[2:3], v[150:151]
	v_accvgpr_write_b32 a71, v85
	v_mov_b32_e32 v179, v83
	v_mov_b32_e32 v83, v61
	v_pk_mul_f32 v[60:61], v[136:137], s[40:41]
	v_accvgpr_write_b32 a86, v84
	v_mov_b32_e32 v52, v154
	v_pk_mul_f32 v[78:79], v[126:127], s[44:45]
	v_accvgpr_write_b32 a72, v86
	v_pk_fma_f32 v[180:181], v[102:103], s[12:13], v[60:61] neg_lo:[1,0,0] neg_hi:[1,0,0]
	v_pk_fma_f32 v[84:85], v[102:103], s[12:13], v[60:61]
	v_pk_fma_f32 v[60:61], v[102:103], s[12:13], v[60:61] neg_lo:[0,0,1] neg_hi:[0,0,1]
	v_pk_fma_f32 v[160:161], v[154:155], s[20:21], v[78:79] neg_lo:[1,0,0] neg_hi:[1,0,0]
	v_pk_fma_f32 v[76:77], v[52:53], s[20:21], v[78:79]
	v_pk_fma_f32 v[78:79], v[52:53], s[20:21], v[78:79] neg_lo:[0,0,1] neg_hi:[0,0,1]
	v_mov_b32_e32 v162, v164
	v_pk_mul_f32 v[62:63], v[128:129], s[46:47]
	v_mov_b32_e32 v181, v85
	v_mov_b32_e32 v85, v61
	v_pk_mul_f32 v[60:61], v[142:143], s[42:43]
	v_accvgpr_write_b32 a84, v87
	v_mov_b32_e32 v161, v77
	v_mov_b32_e32 v77, v79
	v_pk_fma_f32 v[170:171], v[164:165], s[18:19], v[62:63] neg_lo:[1,0,0] neg_hi:[1,0,0]
	v_pk_fma_f32 v[78:79], v[162:163], s[18:19], v[62:63]
	v_pk_fma_f32 v[62:63], v[162:163], s[18:19], v[62:63] neg_lo:[0,0,1] neg_hi:[0,0,1]
	v_pk_fma_f32 v[182:183], v[56:57], s[14:15], v[60:61] neg_lo:[1,0,0] neg_hi:[1,0,0]
	v_pk_fma_f32 v[86:87], v[56:57], s[14:15], v[60:61]
	v_pk_fma_f32 v[60:61], v[56:57], s[14:15], v[60:61] neg_lo:[0,0,1] neg_hi:[0,0,1]
	v_mov_b32_e32 v171, v79
	v_mov_b32_e32 v79, v63
	;; [unrolled: 1-line block ×4, first 2 shown]
	ds_read2_b64 v[60:63], v148 offset1:52
	v_mov_b32_e32 v15, 0x152
	v_cmp_lt_u16_e64 s[2:3], 25, v172
	v_mov_b32_e32 v49, v70
	v_mov_b32_e32 v125, v66
	s_waitcnt lgkmcnt(0)
	v_pk_add_f32 v[76:77], v[60:61], v[76:77]
	v_cndmask_b32_e64 v15, 0, v15, s[2:3]
	v_pk_add_f32 v[76:77], v[78:79], v[76:77]
	v_add_lshl_u32 v15, v11, v15, 3
	v_pk_add_f32 v[76:77], v[80:81], v[76:77]
	v_and_b32_e32 v11, 0xff, v12
	v_pk_add_f32 v[76:77], v[82:83], v[76:77]
	v_pk_add_f32 v[66:67], v[60:61], v[122:123]
	;; [unrolled: 1-line block ×5, first 2 shown]
	v_pk_mul_f32 v[76:77], v[126:127], s[40:41]
	v_mov_b32_e32 v67, v71
	v_pk_fma_f32 v[184:185], v[154:155], s[12:13], v[76:77] neg_lo:[1,0,0] neg_hi:[1,0,0]
	v_pk_fma_f32 v[78:79], v[52:53], s[12:13], v[76:77]
	v_pk_fma_f32 v[76:77], v[52:53], s[12:13], v[76:77] neg_lo:[0,0,1] neg_hi:[0,0,1]
	v_mov_b32_e32 v185, v79
	v_mov_b32_e32 v79, v77
	v_pk_mul_f32 v[76:77], v[128:129], s[38:39]
	v_pk_add_f32 v[48:49], v[66:67], v[48:49]
	v_pk_fma_f32 v[186:187], v[164:165], s[16:17], v[76:77] neg_lo:[1,0,0] neg_hi:[1,0,0]
	v_pk_fma_f32 v[80:81], v[162:163], s[16:17], v[76:77]
	v_pk_fma_f32 v[76:77], v[162:163], s[16:17], v[76:77] neg_lo:[0,0,1] neg_hi:[0,0,1]
	v_mov_b32_e32 v187, v81
	v_mov_b32_e32 v81, v77
	v_pk_mul_f32 v[76:77], v[110:111], s[46:47]
	v_pk_add_f32 v[48:49], v[48:49], v[124:125]
	;; [unrolled: 7-line block ×4, first 2 shown]
	v_pk_fma_f32 v[192:193], v[102:103], s[22:23], v[76:77] neg_lo:[1,0,0] neg_hi:[1,0,0]
	v_pk_fma_f32 v[86:87], v[102:103], s[22:23], v[76:77]
	v_pk_fma_f32 v[76:77], v[102:103], s[22:23], v[76:77] neg_lo:[0,0,1] neg_hi:[0,0,1]
	v_mov_b32_e32 v193, v87
	v_mov_b32_e32 v87, v77
	v_pk_mul_f32 v[76:77], v[142:143], s[52:53]
	v_add_u32_e32 v12, 0x800, v15
	v_pk_fma_f32 v[194:195], v[56:57], s[24:25], v[76:77] neg_lo:[1,0,0] neg_hi:[1,0,0]
	v_pk_fma_f32 v[88:89], v[56:57], s[24:25], v[76:77]
	v_pk_fma_f32 v[76:77], v[56:57], s[24:25], v[76:77] neg_lo:[0,0,1] neg_hi:[0,0,1]
	v_mov_b32_e32 v195, v89
	v_mov_b32_e32 v89, v77
	v_pk_add_f32 v[76:77], v[60:61], v[78:79]
	v_pk_add_f32 v[48:49], v[48:49], v[138:139]
	v_pk_add_f32 v[76:77], v[80:81], v[76:77]
	v_pk_add_f32 v[48:49], v[48:49], v[140:141]
	v_pk_add_f32 v[76:77], v[82:83], v[76:77]
	v_pk_add_f32 v[48:49], v[48:49], v[144:145]
	v_pk_add_f32 v[76:77], v[84:85], v[76:77]
	v_mov_b32_e32 v174, v152
	v_pk_add_f32 v[76:77], v[86:87], v[76:77]
	v_pk_add_f32 v[48:49], v[48:49], v[146:147]
	;; [unrolled: 1-line block ×3, first 2 shown]
	v_mov_b64_e32 v[76:77], s[10:11]
	v_mad_u64_u32 v[76:77], s[60:61], v11, s33, v[76:77]
	global_load_dwordx4 v[96:99], v[76:77], off offset:192
	global_load_dwordx4 v[92:95], v[76:77], off offset:208
	;; [unrolled: 1-line block ×5, first 2 shown]
	s_nop 0
	global_load_dwordx4 v[76:79], v[76:77], off offset:272
	s_waitcnt lgkmcnt(0)
	; wave barrier
	ds_write2_b64 v12, v[166:167], v[196:197] offset0:4 offset1:30
	v_pk_mul_f32 v[144:145], v[126:127], s[48:49]
	v_mov_b32_e32 v168, v156
	v_pk_add_f32 v[48:49], v[48:49], v[174:175]
	v_pk_fma_f32 v[66:67], v[154:155], s[26:27], v[144:145] neg_lo:[1,0,0] neg_hi:[1,0,0]
	v_pk_fma_f32 v[146:147], v[52:53], s[26:27], v[144:145]
	v_pk_mul_f32 v[152:153], v[128:129], s[40:41]
	v_mov_b32_e32 v159, v151
	v_pk_add_f32 v[48:49], v[48:49], v[168:169]
	v_mov_b32_e32 v67, v147
	v_pk_fma_f32 v[70:71], v[164:165], s[12:13], v[152:153] neg_lo:[1,0,0] neg_hi:[1,0,0]
	v_pk_fma_f32 v[156:157], v[162:163], s[12:13], v[152:153]
	v_pk_add_f32 v[48:49], v[48:49], v[158:159]
	v_pk_add_f32 v[66:67], v[60:61], v[66:67]
	v_mov_b32_e32 v71, v157
	v_pk_mul_f32 v[158:159], v[110:111], s[44:45]
	v_pk_add_f32 v[66:67], v[70:71], v[66:67]
	v_pk_fma_f32 v[70:71], v[118:119], s[20:21], v[158:159] neg_lo:[1,0,0] neg_hi:[1,0,0]
	v_pk_fma_f32 v[140:141], v[114:115], s[20:21], v[158:159]
	v_pk_mul_f32 v[138:139], v[130:131], s[38:39]
	v_mov_b32_e32 v71, v141
	v_pk_add_f32 v[66:67], v[70:71], v[66:67]
	v_pk_fma_f32 v[70:71], v[106:107], s[16:17], v[138:139] neg_lo:[1,0,0] neg_hi:[1,0,0]
	v_pk_fma_f32 v[134:135], v[106:107], s[16:17], v[138:139]
	v_pk_mul_f32 v[132:133], v[136:137], s[42:43]
	v_mov_b32_e32 v71, v135
	;; [unrolled: 5-line block ×3, first 2 shown]
	v_pk_add_f32 v[66:67], v[70:71], v[66:67]
	v_pk_fma_f32 v[70:71], v[56:57], s[18:19], v[124:125] neg_lo:[1,0,0] neg_hi:[1,0,0]
	v_mul_u32_u24_e32 v3, 0x152, v8
	v_add_lshl_u32 v8, v3, v11, 3
	v_add_u32_e32 v3, 0x800, v8
	v_accvgpr_write_b32 a66, v37
	v_accvgpr_write_b32 a78, v43
	;; [unrolled: 1-line block ×4, first 2 shown]
	s_waitcnt vmcnt(5)
	v_mul_f32_e32 v12, v73, v99
	v_fma_f32 v166, v72, v98, -v12
	v_mul_f32_e32 v167, v72, v99
	s_waitcnt vmcnt(4)
	v_mul_f32_e32 v12, v69, v93
	v_fmac_f32_e32 v167, v73, v98
	v_fma_f32 v72, v68, v92, -v12
	v_mul_f32_e32 v73, v68, v93
	v_mov_b32_e32 v12, v95
	v_fmac_f32_e32 v73, v69, v92
	v_pk_mul_f32 v[68:69], v[64:65], v[12:13] op_sel_hi:[1,0]
	s_waitcnt vmcnt(3)
	v_mov_b32_e32 v12, v91
	v_pk_fma_f32 v[196:197], v[64:65], v[94:95], v[68:69] op_sel:[0,0,1] op_sel_hi:[1,0,0]
	v_pk_fma_f32 v[64:65], v[64:65], v[94:95], v[68:69] op_sel:[0,0,1] op_sel_hi:[1,0,0] neg_lo:[0,0,1] neg_hi:[0,0,1]
	v_pk_mul_f32 v[68:69], v[112:113], v[88:89] op_sel:[0,1]
	v_mov_b32_e32 v65, v197
	v_pk_fma_f32 v[198:199], v[112:113], v[88:89], v[68:69] op_sel:[0,0,1] op_sel_hi:[1,0,0]
	v_pk_fma_f32 v[68:69], v[112:113], v[88:89], v[68:69] op_sel:[0,0,1] op_sel_hi:[1,0,0] neg_lo:[0,0,1] neg_hi:[0,0,1]
	v_pk_mul_f32 v[112:113], v[108:109], v[12:13] op_sel_hi:[1,0]
	s_waitcnt vmcnt(2)
	v_mov_b32_e32 v12, v87
	v_pk_fma_f32 v[222:223], v[108:109], v[90:91], v[112:113] op_sel:[0,0,1] op_sel_hi:[1,0,0]
	v_pk_fma_f32 v[108:109], v[108:109], v[90:91], v[112:113] op_sel:[0,0,1] op_sel_hi:[1,0,0] neg_lo:[0,0,1] neg_hi:[0,0,1]
	v_pk_mul_f32 v[112:113], v[104:105], v[84:85] op_sel:[0,1]
	v_mov_b32_e32 v69, v199
	v_pk_fma_f32 v[226:227], v[104:105], v[84:85], v[112:113] op_sel:[0,0,1] op_sel_hi:[1,0,0]
	v_pk_fma_f32 v[104:105], v[104:105], v[84:85], v[112:113] op_sel:[0,0,1] op_sel_hi:[1,0,0] neg_lo:[0,0,1] neg_hi:[0,0,1]
	;; [unrolled: 9-line block ×3, first 2 shown]
	v_pk_mul_f32 v[58:59], v[50:51], v[96:97] op_sel:[0,1]
	v_pk_mul_f32 v[100:101], v[54:55], v[12:13] op_sel_hi:[1,0]
	v_mov_b32_e32 v12, v83
	v_pk_fma_f32 v[112:113], v[50:51], v[96:97], v[58:59] op_sel:[0,0,1] op_sel_hi:[1,1,0] neg_lo:[0,0,1] neg_hi:[0,0,1]
	v_pk_fma_f32 v[58:59], v[50:51], v[96:97], v[58:59] op_sel:[0,0,1] op_sel_hi:[1,0,0]
	v_pk_fma_f32 v[50:51], v[54:55], v[78:79], v[100:101] op_sel:[0,0,1] op_sel_hi:[1,1,0] neg_lo:[0,0,1] neg_hi:[0,0,1]
	v_pk_fma_f32 v[54:55], v[54:55], v[78:79], v[100:101] op_sel:[0,0,1] op_sel_hi:[1,0,0]
	v_pk_mul_f32 v[100:101], v[120:121], v[12:13] op_sel_hi:[1,0]
	v_mov_b32_e32 v12, v76
	v_pk_fma_f32 v[242:243], v[120:121], v[82:83], v[100:101] op_sel:[0,0,1] op_sel_hi:[1,1,0] neg_lo:[0,0,1] neg_hi:[0,0,1]
	v_pk_fma_f32 v[100:101], v[120:121], v[82:83], v[100:101] op_sel:[0,0,1] op_sel_hi:[1,0,0]
	v_pk_mul_f32 v[120:121], v[116:117], v[76:77] op_sel:[0,1]
	v_mov_b32_e32 v113, v59
	v_pk_fma_f32 v[244:245], v[116:117], v[12:13], v[120:121] op_sel:[0,0,1] op_sel_hi:[1,1,0] neg_lo:[0,0,1] neg_hi:[0,0,1]
	v_pk_fma_f32 v[116:117], v[116:117], v[76:77], v[120:121] op_sel:[0,0,1] op_sel_hi:[1,0,0]
	v_pk_fma_f32 v[120:121], v[56:57], s[18:19], v[124:125]
	v_mov_b32_e32 v105, v227
	v_mov_b32_e32 v71, v121
	v_pk_add_f32 v[66:67], v[70:71], v[66:67]
	ds_write2_b64 v15, v[48:49], v[66:67] offset1:26
	v_pk_add_f32 v[48:49], v[60:61], v[184:185]
	v_pk_add_f32 v[66:67], v[60:61], v[160:161]
	;; [unrolled: 1-line block ×12, first 2 shown]
	ds_write2_b64 v15, v[48:49], v[66:67] offset0:52 offset1:78
	v_pk_mul_f32 v[48:49], v[126:127], s[38:39]
	v_pk_mul_f32 v[160:161], v[128:129], s[54:55]
	v_pk_fma_f32 v[66:67], v[154:155], s[16:17], v[48:49] neg_lo:[1,0,0] neg_hi:[1,0,0]
	v_pk_fma_f32 v[70:71], v[52:53], s[16:17], v[48:49]
	v_pk_fma_f32 v[168:169], v[164:165], s[28:29], v[160:161] neg_lo:[1,0,0] neg_hi:[1,0,0]
	v_mov_b32_e32 v67, v71
	v_pk_fma_f32 v[170:171], v[162:163], s[28:29], v[160:161]
	v_pk_add_f32 v[66:67], v[60:61], v[66:67]
	v_mov_b32_e32 v169, v171
	v_pk_add_f32 v[66:67], v[168:169], v[66:67]
	v_pk_mul_f32 v[168:169], v[110:111], s[52:53]
	v_pk_mul_f32 v[194:195], v[128:129], s[50:51]
	v_pk_fma_f32 v[174:175], v[118:119], s[24:25], v[168:169] neg_lo:[1,0,0] neg_hi:[1,0,0]
	v_pk_fma_f32 v[176:177], v[114:115], s[24:25], v[168:169]
	v_pk_fma_f32 v[246:247], v[164:165], s[22:23], v[194:195] neg_lo:[1,0,0] neg_hi:[1,0,0]
	v_mov_b32_e32 v175, v177
	v_pk_add_f32 v[66:67], v[174:175], v[66:67]
	v_pk_mul_f32 v[174:175], v[130:131], s[44:45]
	v_pk_fma_f32 v[248:249], v[162:163], s[22:23], v[194:195]
	v_pk_fma_f32 v[178:179], v[106:107], s[20:21], v[174:175] neg_lo:[1,0,0] neg_hi:[1,0,0]
	v_pk_fma_f32 v[180:181], v[106:107], s[20:21], v[174:175]
	v_mov_b32_e32 v247, v249
	v_mov_b32_e32 v179, v181
	v_pk_add_f32 v[66:67], v[178:179], v[66:67]
	v_pk_mul_f32 v[178:179], v[136:137], s[58:59]
	v_pk_mul_f32 v[128:129], v[128:129], s[52:53]
	v_pk_fma_f32 v[182:183], v[102:103], s[34:35], v[178:179] neg_lo:[1,0,0] neg_hi:[1,0,0]
	v_pk_fma_f32 v[184:185], v[102:103], s[34:35], v[178:179]
	v_pk_fma_f32 v[48:49], v[52:53], s[16:17], v[48:49] neg_lo:[0,0,1] neg_hi:[0,0,1]
	v_mov_b32_e32 v183, v185
	v_pk_add_f32 v[66:67], v[182:183], v[66:67]
	v_pk_mul_f32 v[182:183], v[142:143], s[56:57]
	v_mov_b32_e32 v71, v49
	v_pk_fma_f32 v[186:187], v[56:57], s[30:31], v[182:183] neg_lo:[1,0,0] neg_hi:[1,0,0]
	v_pk_fma_f32 v[188:189], v[56:57], s[30:31], v[182:183]
	v_pk_fma_f32 v[48:49], v[162:163], s[28:29], v[160:161] neg_lo:[0,0,1] neg_hi:[0,0,1]
	v_mov_b32_e32 v187, v189
	v_pk_add_f32 v[66:67], v[186:187], v[66:67]
	v_pk_mul_f32 v[186:187], v[126:127], s[42:43]
	v_mov_b32_e32 v171, v49
	v_pk_fma_f32 v[190:191], v[154:155], s[14:15], v[186:187] neg_lo:[1,0,0] neg_hi:[1,0,0]
	v_pk_fma_f32 v[192:193], v[52:53], s[14:15], v[186:187]
	v_pk_fma_f32 v[48:49], v[114:115], s[24:25], v[168:169] neg_lo:[0,0,1] neg_hi:[0,0,1]
	v_mov_b32_e32 v191, v193
	v_pk_add_f32 v[190:191], v[60:61], v[190:191]
	v_mov_b32_e32 v177, v49
	v_pk_add_f32 v[190:191], v[246:247], v[190:191]
	v_pk_mul_f32 v[246:247], v[110:111], s[40:41]
	v_pk_mul_f32 v[110:111], v[110:111], s[42:43]
	v_pk_fma_f32 v[252:253], v[118:119], s[12:13], v[246:247] neg_lo:[1,0,0] neg_hi:[1,0,0]
	v_pk_fma_f32 v[254:255], v[114:115], s[12:13], v[246:247]
	v_pk_fma_f32 v[118:119], v[118:119], s[14:15], v[110:111] neg_lo:[1,0,0] neg_hi:[1,0,0]
	v_mov_b32_e32 v253, v255
	v_pk_add_f32 v[190:191], v[252:253], v[190:191]
	v_pk_mul_f32 v[252:253], v[130:131], s[58:59]
	v_pk_fma_f32 v[48:49], v[106:107], s[20:21], v[174:175] neg_lo:[0,0,1] neg_hi:[0,0,1]
	v_pk_fma_f32 v[224:225], v[106:107], s[34:35], v[252:253] neg_lo:[1,0,0] neg_hi:[1,0,0]
	v_pk_fma_f32 v[230:231], v[106:107], s[34:35], v[252:253]
	v_mov_b32_e32 v181, v49
	v_mov_b32_e32 v225, v231
	v_pk_add_f32 v[190:191], v[224:225], v[190:191]
	v_pk_mul_f32 v[224:225], v[136:137], s[52:53]
	v_pk_fma_f32 v[48:49], v[102:103], s[34:35], v[178:179] neg_lo:[0,0,1] neg_hi:[0,0,1]
	v_pk_fma_f32 v[234:235], v[102:103], s[24:25], v[224:225] neg_lo:[1,0,0] neg_hi:[1,0,0]
	v_pk_fma_f32 v[250:251], v[102:103], s[24:25], v[224:225]
	v_mov_b32_e32 v185, v49
	;; [unrolled: 7-line block ×3, first 2 shown]
	v_mov_b32_e32 v151, v233
	v_pk_add_f32 v[150:151], v[150:151], v[190:191]
	ds_write2_b64 v15, v[66:67], v[150:151] offset0:104 offset1:130
	v_pk_mul_f32 v[66:67], v[126:127], s[46:47]
	v_pk_add_f32 v[48:49], v[60:61], v[70:71]
	v_pk_fma_f32 v[126:127], v[154:155], s[18:19], v[66:67] neg_lo:[1,0,0] neg_hi:[1,0,0]
	v_pk_fma_f32 v[150:151], v[52:53], s[18:19], v[66:67]
	v_pk_fma_f32 v[154:155], v[164:165], s[24:25], v[128:129] neg_lo:[1,0,0] neg_hi:[1,0,0]
	v_mov_b32_e32 v127, v151
	v_pk_fma_f32 v[164:165], v[162:163], s[24:25], v[128:129]
	v_pk_add_f32 v[126:127], v[60:61], v[126:127]
	v_mov_b32_e32 v155, v165
	v_pk_add_f32 v[126:127], v[154:155], v[126:127]
	v_pk_fma_f32 v[154:155], v[114:115], s[14:15], v[110:111]
	v_pk_fma_f32 v[66:67], v[52:53], s[18:19], v[66:67] neg_lo:[0,0,1] neg_hi:[0,0,1]
	v_mov_b32_e32 v119, v155
	v_pk_add_f32 v[118:119], v[118:119], v[126:127]
	v_pk_mul_f32 v[126:127], v[130:131], s[56:57]
	v_mov_b32_e32 v151, v67
	v_pk_fma_f32 v[130:131], v[106:107], s[30:31], v[126:127] neg_lo:[1,0,0] neg_hi:[1,0,0]
	v_pk_fma_f32 v[190:191], v[106:107], s[30:31], v[126:127]
	v_pk_fma_f32 v[66:67], v[162:163], s[24:25], v[128:129] neg_lo:[0,0,1] neg_hi:[0,0,1]
	v_mov_b32_e32 v131, v191
	v_pk_add_f32 v[118:119], v[130:131], v[118:119]
	v_pk_mul_f32 v[130:131], v[136:137], s[38:39]
	v_mov_b32_e32 v165, v67
	v_pk_fma_f32 v[136:137], v[102:103], s[16:17], v[130:131] neg_lo:[1,0,0] neg_hi:[1,0,0]
	v_pk_fma_f32 v[212:213], v[102:103], s[16:17], v[130:131]
	v_pk_fma_f32 v[66:67], v[114:115], s[14:15], v[110:111] neg_lo:[0,0,1] neg_hi:[0,0,1]
	v_mov_b32_e32 v137, v213
	v_mov_b32_e32 v155, v67
	v_pk_fma_f32 v[66:67], v[106:107], s[30:31], v[126:127] neg_lo:[0,0,1] neg_hi:[0,0,1]
	v_pk_add_f32 v[118:119], v[136:137], v[118:119]
	v_pk_mul_f32 v[136:137], v[142:143], s[50:51]
	v_mov_b32_e32 v191, v67
	v_pk_fma_f32 v[66:67], v[102:103], s[16:17], v[130:131] neg_lo:[0,0,1] neg_hi:[0,0,1]
	v_pk_fma_f32 v[142:143], v[56:57], s[22:23], v[136:137] neg_lo:[1,0,0] neg_hi:[1,0,0]
	v_pk_fma_f32 v[218:219], v[56:57], s[22:23], v[136:137]
	v_mov_b32_e32 v213, v67
	v_pk_fma_f32 v[66:67], v[56:57], s[22:23], v[136:137] neg_lo:[0,0,1] neg_hi:[0,0,1]
	v_mov_b32_e32 v143, v219
	v_mov_b32_e32 v219, v67
	v_pk_add_f32 v[66:67], v[60:61], v[150:151]
	v_pk_add_f32 v[118:119], v[142:143], v[118:119]
	;; [unrolled: 1-line block ×11, first 2 shown]
	ds_write2_b64 v15, v[118:119], v[66:67] offset0:156 offset1:182
	v_pk_fma_f32 v[66:67], v[52:53], s[14:15], v[186:187] neg_lo:[0,0,1] neg_hi:[0,0,1]
	v_pk_add_f32 v[48:49], v[188:189], v[48:49]
	v_mov_b32_e32 v193, v67
	v_pk_fma_f32 v[66:67], v[162:163], s[22:23], v[194:195] neg_lo:[0,0,1] neg_hi:[0,0,1]
	v_mov_b32_e32 v237, v229
	v_mov_b32_e32 v249, v67
	v_pk_fma_f32 v[66:67], v[114:115], s[12:13], v[246:247] neg_lo:[0,0,1] neg_hi:[0,0,1]
	v_mov_b32_e32 v241, v239
	;; [unrolled: 3-line block ×5, first 2 shown]
	v_mov_b32_e32 v233, v67
	v_pk_add_f32 v[66:67], v[60:61], v[192:193]
	v_pk_add_f32 v[58:59], v[108:109], v[104:105]
	;; [unrolled: 1-line block ×3, first 2 shown]
	s_mov_b32 s40, s27
	v_pk_add_f32 v[66:67], v[254:255], v[66:67]
	v_pk_fma_f32 v[106:107], v[106:107], s[16:17], v[138:139] neg_lo:[0,0,1] neg_hi:[0,0,1]
	v_pk_add_f32 v[66:67], v[230:231], v[66:67]
	v_mov_b32_e32 v135, v107
	v_pk_add_f32 v[66:67], v[250:251], v[66:67]
	v_pk_fma_f32 v[102:103], v[102:103], s[14:15], v[132:133] neg_lo:[0,0,1] neg_hi:[0,0,1]
	v_pk_add_f32 v[66:67], v[232:233], v[66:67]
	ds_write2_b64 v15, v[66:67], v[48:49] offset0:208 offset1:234
	v_pk_add_f32 v[48:49], v[62:63], v[112:113]
	v_pk_add_f32 v[66:67], v[108:109], v[104:105] neg_lo:[0,1] neg_hi:[0,1]
	v_pk_add_f32 v[48:49], v[48:49], v[166:167]
	v_pk_add_f32 v[100:101], v[68:69], v[236:237]
	;; [unrolled: 1-line block ×3, first 2 shown]
	s_mov_b32 s38, s15
	v_pk_add_f32 v[48:49], v[48:49], v[64:65]
	v_mov_b32_e32 v123, v103
	v_pk_add_f32 v[48:49], v[48:49], v[68:69]
	v_pk_add_f32 v[70:71], v[166:167], v[244:245] neg_lo:[0,1] neg_hi:[0,1]
	v_pk_add_f32 v[48:49], v[48:49], v[108:109]
	v_pk_add_f32 v[108:109], v[112:113], v[50:51]
	;; [unrolled: 1-line block ×3, first 2 shown]
	v_pk_add_f32 v[112:113], v[112:113], v[50:51] neg_lo:[0,1] neg_hi:[0,1]
	v_pk_add_f32 v[48:49], v[48:49], v[236:237]
	v_pk_add_f32 v[104:105], v[68:69], v[236:237] neg_lo:[0,1] neg_hi:[0,1]
	v_pk_add_f32 v[48:49], v[48:49], v[240:241]
	v_pk_mul_f32 v[118:119], v[104:105], s[14:15] op_sel:[1,0] op_sel_hi:[0,0]
	v_pk_add_f32 v[48:49], v[48:49], v[242:243]
	v_pk_fma_f32 v[106:107], v[100:101], s[38:39], v[118:119] op_sel_hi:[1,0,1]
	v_pk_add_f32 v[48:49], v[48:49], v[244:245]
	v_pk_fma_f32 v[132:133], v[100:101], s[38:39], v[118:119] op_sel_hi:[1,0,1] neg_lo:[0,0,1] neg_hi:[0,0,1]
	v_pk_add_f32 v[126:127], v[48:49], v[50:51]
	v_pk_fma_f32 v[48:49], v[52:53], s[26:27], v[144:145] neg_lo:[0,0,1] neg_hi:[0,0,1]
	v_pk_mul_f32 v[52:53], v[112:113], s[26:27] op_sel:[1,0] op_sel_hi:[0,0]
	v_mov_b32_e32 v147, v49
	v_pk_fma_f32 v[48:49], v[162:163], s[12:13], v[152:153] neg_lo:[0,0,1] neg_hi:[0,0,1]
	v_pk_fma_f32 v[50:51], v[108:109], s[40:41], v[52:53] op_sel_hi:[1,0,1]
	v_mov_b32_e32 v157, v49
	v_pk_fma_f32 v[128:129], v[108:109], s[40:41], v[52:53] op_sel_hi:[1,0,1] neg_lo:[0,0,1] neg_hi:[0,0,1]
	v_pk_add_f32 v[48:49], v[60:61], v[146:147]
	v_pk_fma_f32 v[52:53], v[114:115], s[20:21], v[158:159] neg_lo:[0,0,1] neg_hi:[0,0,1]
	v_pk_add_f32 v[60:61], v[156:157], v[48:49]
	v_mov_b32_e32 v141, v53
	v_pk_add_f32 v[114:115], v[140:141], v[60:61]
	v_pk_add_f32 v[110:111], v[64:65], v[240:241]
	;; [unrolled: 1-line block ×3, first 2 shown]
	v_pk_add_f32 v[116:117], v[64:65], v[240:241] neg_lo:[0,1] neg_hi:[0,1]
	v_pk_add_f32 v[118:119], v[122:123], v[114:115]
	v_pk_fma_f32 v[122:123], v[56:57], s[18:19], v[124:125] neg_lo:[0,0,1] neg_hi:[0,0,1]
	v_pk_add_f32 v[64:65], v[72:73], v[242:243] neg_lo:[0,1] neg_hi:[0,1]
	v_pk_add_f32 v[68:69], v[166:167], v[244:245]
	s_mov_b32 s26, s13
	v_pk_mul_f32 v[114:115], v[70:71], s[12:13] op_sel:[1,0] op_sel_hi:[0,0]
	v_mov_b32_e32 v121, v123
	v_pk_add_f32 v[54:55], v[72:73], v[242:243]
	s_mov_b32 s42, s21
	v_mov_b32_e32 v49, v129
	v_pk_fma_f32 v[56:57], v[68:69], s[26:27], v[114:115] op_sel_hi:[1,0,1]
	v_pk_fma_f32 v[124:125], v[68:69], s[26:27], v[114:115] op_sel_hi:[1,0,1] neg_lo:[0,0,1] neg_hi:[0,0,1]
	v_pk_add_f32 v[118:119], v[120:121], v[118:119]
	v_pk_mul_f32 v[120:121], v[64:65], s[20:21] op_sel:[1,0] op_sel_hi:[0,0]
	v_mov_b32_e32 v129, v51
	v_pk_mul_f32 v[72:73], v[112:113], s[12:13] op_sel:[1,0] op_sel_hi:[0,0]
	s_mov_b32 s44, s17
	v_pk_mul_f32 v[60:61], v[116:117], s[16:17] op_sel:[1,0] op_sel_hi:[0,0]
	v_mov_b32_e32 v115, v125
	ds_write_b64 v15, v[118:119] offset:2496
	v_pk_fma_f32 v[118:119], v[54:55], s[42:43], v[120:121] op_sel_hi:[1,0,1]
	v_pk_fma_f32 v[120:121], v[54:55], s[42:43], v[120:121] op_sel_hi:[1,0,1] neg_lo:[0,0,1] neg_hi:[0,0,1]
	v_pk_add_f32 v[122:123], v[62:63], v[128:129]
	v_mov_b32_e32 v125, v57
	v_pk_fma_f32 v[130:131], v[108:109], s[26:27], v[72:73] op_sel_hi:[1,0,1] neg_lo:[0,0,1] neg_hi:[0,0,1]
	v_pk_fma_f32 v[52:53], v[108:109], s[26:27], v[72:73] op_sel_hi:[1,0,1]
	v_pk_fma_f32 v[72:73], v[110:111], s[44:45], v[60:61] op_sel_hi:[1,0,1]
	v_pk_fma_f32 v[136:137], v[110:111], s[44:45], v[60:61] op_sel_hi:[1,0,1] neg_lo:[0,0,1] neg_hi:[0,0,1]
	v_pk_add_f32 v[122:123], v[124:125], v[122:123]
	v_mov_b32_e32 v51, v121
	v_mov_b32_e32 v121, v119
	;; [unrolled: 1-line block ×3, first 2 shown]
	v_pk_add_f32 v[120:121], v[120:121], v[122:123]
	v_pk_mul_f32 v[122:123], v[66:67], s[18:19] op_sel:[1,0] op_sel_hi:[0,0]
	v_mov_b32_e32 v137, v73
	v_mov_b32_e32 v103, v133
	v_pk_add_f32 v[124:125], v[136:137], v[120:121]
	v_pk_fma_f32 v[120:121], v[58:59], s[46:47], v[122:123] op_sel_hi:[1,0,1]
	v_pk_fma_f32 v[122:123], v[58:59], s[46:47], v[122:123] op_sel_hi:[1,0,1] neg_lo:[0,0,1] neg_hi:[0,0,1]
	v_mov_b32_e32 v133, v107
	v_pk_add_f32 v[124:125], v[132:133], v[124:125]
	v_mov_b32_e32 v73, v123
	v_mov_b32_e32 v123, v121
	v_pk_add_f32 v[124:125], v[122:123], v[124:125]
	ds_write2_b64 v8, v[126:127], v[124:125] offset1:26
	v_pk_mul_f32 v[124:125], v[70:71], s[16:17] op_sel:[1,0] op_sel_hi:[0,0]
	v_mov_b32_e32 v123, v131
	v_pk_fma_f32 v[126:127], v[68:69], s[44:45], v[124:125] op_sel_hi:[1,0,1] neg_lo:[0,0,1] neg_hi:[0,0,1]
	v_pk_fma_f32 v[132:133], v[68:69], s[44:45], v[124:125] op_sel_hi:[1,0,1]
	v_mov_b32_e32 v131, v53
	v_pk_add_f32 v[124:125], v[62:63], v[130:131]
	v_mov_b32_e32 v53, v127
	v_mov_b32_e32 v127, v133
	v_pk_add_f32 v[124:125], v[126:127], v[124:125]
	v_pk_mul_f32 v[126:127], v[64:65], s[18:19] op_sel:[1,0] op_sel_hi:[0,0]
	v_pk_fma_f32 v[128:129], v[54:55], s[46:47], v[126:127] op_sel_hi:[1,0,1] neg_lo:[0,0,1] neg_hi:[0,0,1]
	v_pk_fma_f32 v[144:145], v[54:55], s[46:47], v[126:127] op_sel_hi:[1,0,1]
	v_mov_b32_e32 v107, v129
	v_mov_b32_e32 v129, v145
	v_pk_mul_f32 v[126:127], v[116:117], s[28:29] op_sel:[1,0] op_sel_hi:[0,0]
	v_pk_add_f32 v[124:125], v[128:129], v[124:125]
	v_pk_fma_f32 v[128:129], v[110:111], s[38:39], v[126:127] op_sel_hi:[1,0,1] neg_lo:[0,0,1] neg_hi:[0,0,1]
	v_pk_fma_f32 v[146:147], v[110:111], s[38:39], v[126:127] op_sel_hi:[1,0,1]
	v_mov_b32_e32 v143, v129
	v_mov_b32_e32 v129, v147
	v_pk_mul_f32 v[126:127], v[104:105], s[22:23] op_sel:[1,0] op_sel_hi:[0,0]
	v_pk_add_f32 v[124:125], v[128:129], v[124:125]
	;; [unrolled: 6-line block ×4, first 2 shown]
	v_pk_fma_f32 v[124:125], v[108:109], s[42:43], v[126:127] op_sel_hi:[1,0,1] neg_lo:[0,0,1] neg_hi:[0,0,1]
	v_pk_fma_f32 v[126:127], v[108:109], s[42:43], v[126:127] op_sel_hi:[1,0,1]
	v_mov_b32_e32 v128, v124
	v_mov_b32_e32 v129, v127
	v_pk_add_f32 v[134:135], v[62:63], v[128:129]
	v_pk_mul_f32 v[128:129], v[70:71], s[18:19] op_sel:[1,0] op_sel_hi:[0,0]
	v_pk_fma_f32 v[130:131], v[68:69], s[46:47], v[128:129] op_sel_hi:[1,0,1] neg_lo:[0,0,1] neg_hi:[0,0,1]
	v_pk_fma_f32 v[128:129], v[68:69], s[46:47], v[128:129] op_sel_hi:[1,0,1]
	v_mov_b32_e32 v136, v130
	v_mov_b32_e32 v137, v129
	v_pk_add_f32 v[138:139], v[136:137], v[134:135]
	v_pk_mul_f32 v[134:135], v[64:65], s[36:37] op_sel:[1,0] op_sel_hi:[0,0]
	;; [unrolled: 6-line block ×5, first 2 shown]
	v_pk_fma_f32 v[158:159], v[58:59], s[38:39], v[152:153] op_sel_hi:[1,0,1] neg_lo:[0,0,1] neg_hi:[0,0,1]
	v_pk_fma_f32 v[152:153], v[58:59], s[38:39], v[152:153] op_sel_hi:[1,0,1]
	v_mov_b32_e32 v166, v158
	v_mov_b32_e32 v167, v153
	v_pk_add_f32 v[164:165], v[166:167], v[164:165]
	ds_write2_b64 v8, v[162:163], v[164:165] offset0:52 offset1:78
	v_pk_mul_f32 v[162:163], v[112:113], s[16:17] op_sel:[1,0] op_sel_hi:[0,0]
	v_pk_fma_f32 v[164:165], v[108:109], s[44:45], v[162:163] op_sel_hi:[1,0,1] neg_lo:[0,0,1] neg_hi:[0,0,1]
	v_pk_fma_f32 v[166:167], v[108:109], s[44:45], v[162:163] op_sel_hi:[1,0,1]
	v_pk_mul_f32 v[168:169], v[70:71], s[28:29] op_sel:[1,0] op_sel_hi:[0,0]
	v_mov_b32_e32 v162, v164
	v_mov_b32_e32 v163, v167
	v_pk_fma_f32 v[170:171], v[68:69], s[38:39], v[168:169] op_sel_hi:[1,0,1] neg_lo:[0,0,1] neg_hi:[0,0,1]
	v_pk_fma_f32 v[168:169], v[68:69], s[38:39], v[168:169] op_sel_hi:[1,0,1]
	v_pk_add_f32 v[162:163], v[62:63], v[162:163]
	v_mov_b32_e32 v174, v170
	v_mov_b32_e32 v175, v169
	v_pk_add_f32 v[162:163], v[174:175], v[162:163]
	v_pk_mul_f32 v[174:175], v[64:65], s[24:25] op_sel:[1,0] op_sel_hi:[0,0]
	v_pk_fma_f32 v[176:177], v[54:55], s[40:41], v[174:175] op_sel_hi:[1,0,1] neg_lo:[0,0,1] neg_hi:[0,0,1]
	v_pk_fma_f32 v[174:175], v[54:55], s[40:41], v[174:175] op_sel_hi:[1,0,1]
	v_mov_b32_e32 v178, v176
	v_mov_b32_e32 v179, v175
	v_pk_add_f32 v[162:163], v[178:179], v[162:163]
	v_pk_mul_f32 v[178:179], v[116:117], s[20:21] op_sel:[1,0] op_sel_hi:[0,0]
	v_pk_fma_f32 v[180:181], v[110:111], s[42:43], v[178:179] op_sel_hi:[1,0,1] neg_lo:[0,0,1] neg_hi:[0,0,1]
	v_pk_fma_f32 v[178:179], v[110:111], s[42:43], v[178:179] op_sel_hi:[1,0,1]
	;; [unrolled: 6-line block ×5, first 2 shown]
	v_pk_mul_f32 v[196:197], v[70:71], s[22:23] op_sel:[1,0] op_sel_hi:[0,0]
	v_mov_b32_e32 v194, v192
	v_mov_b32_e32 v195, v191
	v_pk_fma_f32 v[198:199], v[68:69], s[42:43], v[196:197] op_sel_hi:[1,0,1] neg_lo:[0,0,1] neg_hi:[0,0,1]
	v_pk_fma_f32 v[196:197], v[68:69], s[42:43], v[196:197] op_sel_hi:[1,0,1]
	v_pk_add_f32 v[194:195], v[62:63], v[194:195]
	v_mov_b32_e32 v212, v198
	v_mov_b32_e32 v213, v197
	v_pk_add_f32 v[194:195], v[212:213], v[194:195]
	v_pk_mul_f32 v[212:213], v[64:65], s[12:13] op_sel:[1,0] op_sel_hi:[0,0]
	v_pk_fma_f32 v[218:219], v[54:55], s[26:27], v[212:213] op_sel_hi:[1,0,1] neg_lo:[0,0,1] neg_hi:[0,0,1]
	v_pk_fma_f32 v[212:213], v[54:55], s[26:27], v[212:213] op_sel_hi:[1,0,1]
	v_mov_b32_e32 v224, v218
	v_mov_b32_e32 v225, v213
	v_pk_add_f32 v[194:195], v[224:225], v[194:195]
	v_pk_mul_f32 v[224:225], v[116:117], s[34:35] op_sel:[1,0] op_sel_hi:[0,0]
	v_pk_fma_f32 v[230:231], v[110:111], s[46:47], v[224:225] op_sel_hi:[1,0,1] neg_lo:[0,0,1] neg_hi:[0,0,1]
	v_pk_fma_f32 v[224:225], v[110:111], s[46:47], v[224:225] op_sel_hi:[1,0,1]
	;; [unrolled: 6-line block ×4, first 2 shown]
	v_mov_b32_e32 v242, v240
	v_mov_b32_e32 v243, v237
	v_pk_add_f32 v[194:195], v[242:243], v[194:195]
	v_pk_mul_f32 v[116:117], v[116:117], s[30:31] op_sel:[1,0] op_sel_hi:[0,0]
	v_pk_mul_f32 v[104:105], v[104:105], s[16:17] op_sel:[1,0] op_sel_hi:[0,0]
	ds_write2_b64 v8, v[162:163], v[194:195] offset0:104 offset1:130
	v_pk_fma_f32 v[162:163], v[110:111], s[26:27], v[116:117] op_sel_hi:[1,0,1] neg_lo:[0,0,1] neg_hi:[0,0,1]
	v_pk_fma_f32 v[110:111], v[110:111], s[26:27], v[116:117] op_sel_hi:[1,0,1]
	v_pk_fma_f32 v[116:117], v[100:101], s[44:45], v[104:105] op_sel_hi:[1,0,1] neg_lo:[0,0,1] neg_hi:[0,0,1]
	v_pk_fma_f32 v[100:101], v[100:101], s[44:45], v[104:105] op_sel_hi:[1,0,1]
	v_pk_mul_f32 v[104:105], v[112:113], s[18:19] op_sel:[1,0] op_sel_hi:[0,0]
	v_pk_mul_f32 v[66:67], v[66:67], s[22:23] op_sel:[1,0] op_sel_hi:[0,0]
	v_pk_fma_f32 v[112:113], v[108:109], s[46:47], v[104:105] op_sel_hi:[1,0,1] neg_lo:[0,0,1] neg_hi:[0,0,1]
	v_pk_fma_f32 v[104:105], v[108:109], s[46:47], v[104:105] op_sel_hi:[1,0,1]
	v_pk_fma_f32 v[108:109], v[58:59], s[42:43], v[66:67] op_sel_hi:[1,0,1] neg_lo:[0,0,1] neg_hi:[0,0,1]
	v_pk_fma_f32 v[58:59], v[58:59], s[42:43], v[66:67] op_sel_hi:[1,0,1]
	v_pk_mul_f32 v[66:67], v[70:71], s[24:25] op_sel:[1,0] op_sel_hi:[0,0]
	v_pk_mul_f32 v[64:65], v[64:65], s[14:15] op_sel:[1,0] op_sel_hi:[0,0]
	v_pk_fma_f32 v[70:71], v[68:69], s[40:41], v[66:67] op_sel_hi:[1,0,1] neg_lo:[0,0,1] neg_hi:[0,0,1]
	v_pk_fma_f32 v[66:67], v[68:69], s[40:41], v[66:67] op_sel_hi:[1,0,1]
	v_pk_fma_f32 v[68:69], v[54:55], s[38:39], v[64:65] op_sel_hi:[1,0,1] neg_lo:[0,0,1] neg_hi:[0,0,1]
	v_pk_fma_f32 v[54:55], v[54:55], s[38:39], v[64:65] op_sel_hi:[1,0,1]
	v_mov_b32_e32 v64, v112
	v_mov_b32_e32 v65, v105
	v_pk_add_f32 v[64:65], v[62:63], v[64:65]
	v_mov_b32_e32 v194, v70
	v_mov_b32_e32 v195, v67
	;; [unrolled: 1-line block ×3, first 2 shown]
	v_pk_add_f32 v[64:65], v[194:195], v[64:65]
	v_mov_b32_e32 v194, v68
	v_mov_b32_e32 v195, v55
	;; [unrolled: 1-line block ×4, first 2 shown]
	v_pk_add_f32 v[68:69], v[62:63], v[104:105]
	v_pk_add_f32 v[64:65], v[194:195], v[64:65]
	;; [unrolled: 1-line block ×3, first 2 shown]
	v_mov_b32_e32 v194, v162
	v_mov_b32_e32 v195, v111
	v_mov_b32_e32 v111, v163
	v_pk_add_f32 v[54:55], v[54:55], v[66:67]
	v_pk_add_f32 v[64:65], v[194:195], v[64:65]
	v_mov_b32_e32 v194, v116
	v_mov_b32_e32 v195, v101
	v_mov_b32_e32 v101, v117
	v_pk_add_f32 v[54:55], v[110:111], v[54:55]
	v_pk_add_f32 v[64:65], v[194:195], v[64:65]
	;; [unrolled: 5-line block ×3, first 2 shown]
	v_pk_add_f32 v[54:55], v[58:59], v[54:55]
	v_mov_b32_e32 v48, v50
	v_mov_b32_e32 v122, v52
	ds_write2_b64 v8, v[64:65], v[54:55] offset0:156 offset1:182
	v_mov_b32_e32 v52, v132
	v_mov_b32_e32 v114, v56
	v_pk_add_f32 v[48:49], v[62:63], v[48:49]
	v_pk_add_f32 v[54:55], v[62:63], v[122:123]
	v_mov_b32_e32 v102, v106
	v_mov_b32_e32 v106, v144
	v_pk_add_f32 v[48:49], v[114:115], v[48:49]
	v_pk_add_f32 v[52:53], v[52:53], v[54:55]
	v_mov_b32_e32 v50, v118
	v_mov_b32_e32 v142, v146
	;; [unrolled: 1-line block ×3, first 2 shown]
	v_pk_add_f32 v[48:49], v[50:51], v[48:49]
	v_pk_add_f32 v[50:51], v[106:107], v[52:53]
	v_mov_b32_e32 v146, v150
	v_pk_add_f32 v[48:49], v[60:61], v[48:49]
	v_pk_add_f32 v[50:51], v[142:143], v[50:51]
	v_mov_b32_e32 v72, v120
	v_mov_b32_e32 v120, v160
	v_pk_add_f32 v[48:49], v[102:103], v[48:49]
	v_pk_add_f32 v[50:51], v[146:147], v[50:51]
	v_mov_b32_e32 v191, v193
	v_mov_b32_e32 v167, v165
	v_pk_add_f32 v[162:163], v[72:73], v[48:49]
	v_pk_add_f32 v[160:161], v[120:121], v[50:51]
	v_mov_b32_e32 v197, v199
	v_pk_add_f32 v[48:49], v[62:63], v[190:191]
	v_pk_add_f32 v[50:51], v[62:63], v[166:167]
	v_mov_b32_e32 v169, v171
	v_mov_b32_e32 v213, v219
	v_pk_add_f32 v[48:49], v[196:197], v[48:49]
	v_mov_b32_e32 v175, v177
	v_pk_add_f32 v[50:51], v[168:169], v[50:51]
	;; [unrolled: 2-line block ×8, first 2 shown]
	v_pk_add_f32 v[48:49], v[236:237], v[48:49]
	v_pk_add_f32 v[50:51], v[186:187], v[50:51]
	v_mov_b32_e32 v127, v125
	ds_write2_b64 v8, v[48:49], v[50:51] offset0:208 offset1:234
	v_pk_add_f32 v[48:49], v[62:63], v[126:127]
	v_mov_b32_e32 v129, v131
	v_mov_b32_e32 v135, v137
	v_pk_add_f32 v[48:49], v[128:129], v[48:49]
	v_mov_b32_e32 v139, v155
	v_pk_add_f32 v[48:49], v[134:135], v[48:49]
	;; [unrolled: 2-line block ×4, first 2 shown]
	ds_write_b64 v8, v[162:163] offset:2496
	v_pk_add_f32 v[48:49], v[152:153], v[48:49]
	ds_write2_b64 v3, v[48:49], v[160:161] offset0:4 offset1:30
	v_add_u32_e32 v3, 0x1c00, v148
	s_waitcnt lgkmcnt(0)
	; wave barrier
	s_waitcnt lgkmcnt(0)
	ds_read2_b64 v[132:135], v148 offset1:52
	ds_read2_b64 v[144:147], v207 offset0:82 offset1:134
	ds_read2_b64 v[140:143], v211 offset0:164 offset1:216
	;; [unrolled: 1-line block ×11, first 2 shown]
	s_load_dwordx2 s[12:13], s[0:1], 0x38
	v_accvgpr_write_b32 a68, v95
	v_accvgpr_write_b32 a60, v91
	v_mov_b32_e32 v222, v87
	v_mov_b32_e32 v44, v79
	;; [unrolled: 1-line block ×4, first 2 shown]
	s_and_saveexec_b64 s[0:1], s[2:3]
	s_xor_b64 s[0:1], exec, s[0:1]
	s_or_saveexec_b64 s[0:1], s[0:1]
	v_add_u32_e32 v3, 0x138, v172
                                        ; implicit-def: $vgpr164
                                        ; implicit-def: $vgpr166
                                        ; implicit-def: $vgpr168
	s_xor_b64 exec, exec, s[0:1]
	s_cbranch_execz .LBB0_3
; %bb.2:
	ds_read_b64 v[160:161], v148 offset:2496
	ds_read_b64 v[162:163], v148 offset:5200
	;; [unrolled: 1-line block ×4, first 2 shown]
	v_mov_b32_e32 v74, v3
	s_waitcnt lgkmcnt(0)
	v_mov_b32_e32 v168, v167
.LBB0_3:
	s_or_b64 exec, exec, s[0:1]
	v_mad_u64_u32 v[174:175], s[0:1], v172, 24, s[10:11]
	v_mul_hi_i32_i24_e32 v49, 24, v74
	v_mul_i32_i24_e32 v48, 24, v74
	global_load_dwordx2 v[154:155], v[174:175], off offset:2704
	global_load_dwordx4 v[56:59], v[174:175], off offset:2688
	v_lshl_add_u64 v[52:53], s[10:11], 0, v[48:49]
	global_load_dwordx4 v[72:75], v[174:175], off offset:3936
	global_load_dwordx4 v[48:51], v[52:53], off offset:2688
	s_mov_b64 s[0:1], 0x4e0
	v_lshl_add_u64 v[54:55], v[174:175], 0, s[0:1]
	global_load_dwordx2 v[198:199], v[174:175], off offset:3952
	global_load_dwordx2 v[156:157], v[54:55], off offset:3952
	global_load_dwordx4 v[60:63], v[54:55], off offset:3936
	global_load_dwordx2 v[152:153], v[52:53], off offset:2704
	v_mov_b32_e32 v53, v88
	v_mov_b32_e32 v52, v88
	v_accvgpr_write_b32 a157, v53
	v_accvgpr_write_b32 a156, v52
	v_mov_b32_e32 v53, v84
	v_mov_b32_e32 v52, v84
	v_accvgpr_write_b32 a155, v53
	v_accvgpr_write_b32 a154, v52
	v_mov_b32_e32 v53, v80
	v_add_u32_e32 v169, 0x23c0, v203
	v_accvgpr_mov_b32 a61, a60
	v_mov_b32_e32 v52, v80
	v_accvgpr_write_b32 a153, v53
	s_movk_i32 s11, 0x1000
	v_add_u32_e32 v167, 0x2700, v203
	v_accvgpr_mov_b32 a139, a61
	v_accvgpr_write_b32 a152, v52
	v_add_co_u32_e64 v52, s[0:1], s11, v174
	v_mov_b32_e32 v37, v36
	v_accvgpr_read_b32 v32, a58
	v_accvgpr_read_b32 v33, a58
	v_accvgpr_mov_b32 a138, a60
	v_addc_co_u32_e64 v53, s[0:1], 0, v175, s[0:1]
	v_accvgpr_write_b32 a61, v37
	s_movk_i32 s10, 0x2000
	global_load_dwordx4 v[68:71], v[52:53], off offset:2336
	global_load_dwordx4 v[64:67], v[52:53], off offset:3584
	v_accvgpr_write_b32 a60, v36
	v_accvgpr_write_b32 a59, v35
	;; [unrolled: 1-line block ×3, first 2 shown]
	v_add_co_u32_e64 v52, s[0:1], s10, v174
	v_mov_b32_e32 v25, v24
	s_nop 0
	v_addc_co_u32_e64 v53, s[0:1], 0, v175, s[0:1]
	v_accvgpr_write_b32 a75, v25
	s_mov_b64 s[0:1], 0x1920
	v_accvgpr_write_b32 a74, v24
	v_mov_b32_e32 v25, v40
	v_mov_b32_e32 v24, v40
	v_accvgpr_write_b32 a151, v25
	v_accvgpr_write_b32 a150, v24
	v_mov_b32_e32 v39, v38
	v_accvgpr_write_b32 a77, v39
	v_accvgpr_write_b32 a76, v38
	global_load_dwordx4 v[52:55], v[52:53], off offset:736
	v_accvgpr_mov_b32 a69, a68
	v_accvgpr_mov_b32 a67, a66
	;; [unrolled: 1-line block ×11, first 2 shown]
	v_mov_b32_e32 v47, v46
	v_accvgpr_write_b32 a132, v44
	v_accvgpr_write_b32 a133, v44
	v_accvgpr_mov_b32 a68, a64
	v_accvgpr_mov_b32 a67, a63
	;; [unrolled: 1-line block ×3, first 2 shown]
	v_mov_b32_e32 v44, v45
	v_accvgpr_write_b32 a65, v47
	v_accvgpr_write_b32 a64, v46
	;; [unrolled: 1-line block ×4, first 2 shown]
	v_add_u32_e32 v47, 0x2000, v148
	v_add_u32_e32 v37, 0x800, v148
	v_mov_b32_e32 v223, v222
	v_accvgpr_write_b32 a134, v222
	s_waitcnt vmcnt(9)
	v_mov_b32_e32 v34, v59
	s_waitcnt vmcnt(8)
	v_mov_b32_e32 v24, v75
	s_waitcnt vmcnt(7)
	v_pk_mul_f32 v[150:151], v[162:163], v[48:49] op_sel_hi:[0,1]
	v_pk_fma_f32 v[184:185], v[162:163], v[48:49], v[150:151] op_sel:[0,0,1] op_sel_hi:[1,1,0] neg_lo:[1,0,0] neg_hi:[1,0,0]
	v_pk_fma_f32 v[150:151], v[162:163], v[48:49], v[150:151] op_sel:[1,0,1] op_sel_hi:[1,1,0]
	v_pk_mul_f32 v[162:163], v[168:169], v[50:51] op_sel_hi:[0,1]
	v_mov_b32_e32 v151, v185
	v_pk_fma_f32 v[184:185], v[166:167], v[50:51], v[162:163] op_sel:[0,0,1] op_sel_hi:[0,1,0]
	v_pk_fma_f32 v[162:163], v[166:167], v[50:51], v[162:163] op_sel:[0,0,1] op_sel_hi:[0,1,0] neg_lo:[0,0,1] neg_hi:[0,0,1]
	v_mov_b32_e32 v163, v185
	s_waitcnt lgkmcnt(0)
	v_pk_mul_f32 v[184:185], v[144:145], v[56:57] op_sel:[0,1]
	s_waitcnt vmcnt(6)
	v_accvgpr_write_b32 a104, v198
	v_pk_fma_f32 v[186:187], v[144:145], v[56:57], v[184:185] op_sel:[0,0,1] op_sel_hi:[1,1,0] neg_lo:[0,0,1] neg_hi:[0,0,1]
	v_pk_fma_f32 v[144:145], v[144:145], v[56:57], v[184:185] op_sel:[0,0,1] op_sel_hi:[1,0,0]
	v_pk_mul_f32 v[184:185], v[140:141], v[34:35] op_sel_hi:[1,0]
	v_accvgpr_write_b32 a105, v199
	v_pk_fma_f32 v[188:189], v[140:141], v[58:59], v[184:185] op_sel:[0,0,1] op_sel_hi:[1,1,0] neg_lo:[0,0,1] neg_hi:[0,0,1]
	v_pk_fma_f32 v[140:141], v[140:141], v[58:59], v[184:185] op_sel:[0,0,1] op_sel_hi:[1,0,0]
	v_pk_mul_f32 v[184:185], v[136:137], v[154:155] op_sel:[0,1]
	v_mov_b32_e32 v189, v141
	v_lshl_add_u64 v[140:141], v[174:175], 0, s[0:1]
	global_load_dwordx2 v[34:35], v[140:141], off offset:16
	v_pk_fma_f32 v[190:191], v[136:137], v[154:155], v[184:185] op_sel:[0,0,1] op_sel_hi:[1,1,0] neg_lo:[0,0,1] neg_hi:[0,0,1]
	v_pk_fma_f32 v[136:137], v[136:137], v[154:155], v[184:185] op_sel:[0,0,1] op_sel_hi:[1,0,0]
	v_pk_mul_f32 v[184:185], v[146:147], v[72:73] op_sel:[0,1]
	v_mov_b32_e32 v136, v165
	v_pk_fma_f32 v[192:193], v[146:147], v[72:73], v[184:185] op_sel:[0,0,1] op_sel_hi:[1,1,0] neg_lo:[0,0,1] neg_hi:[0,0,1]
	v_pk_fma_f32 v[146:147], v[146:147], v[72:73], v[184:185] op_sel:[0,0,1] op_sel_hi:[1,0,0]
	v_pk_mul_f32 v[184:185], v[142:143], v[24:25] op_sel_hi:[1,0]
	v_mov_b32_e32 v187, v145
	v_pk_fma_f32 v[194:195], v[142:143], v[74:75], v[184:185] op_sel:[0,0,1] op_sel_hi:[1,1,0] neg_lo:[0,0,1] neg_hi:[0,0,1]
	v_pk_fma_f32 v[142:143], v[142:143], v[74:75], v[184:185] op_sel:[0,0,1] op_sel_hi:[1,0,0]
	v_pk_mul_f32 v[184:185], v[138:139], v[198:199] op_sel:[0,1]
	v_mov_b32_e32 v191, v137
	v_pk_fma_f32 v[196:197], v[138:139], v[198:199], v[184:185] op_sel:[0,0,1] op_sel_hi:[1,1,0] neg_lo:[0,0,1] neg_hi:[0,0,1]
	v_pk_fma_f32 v[184:185], v[138:139], v[198:199], v[184:185] op_sel:[0,0,1] op_sel_hi:[1,0,0]
	s_waitcnt vmcnt(4)
	v_pk_mul_f32 v[138:139], v[164:165], v[152:153] op_sel_hi:[0,1]
	v_pk_fma_f32 v[164:165], v[164:165], v[152:153], v[138:139] op_sel:[0,0,1] op_sel_hi:[1,1,0] neg_lo:[1,0,0] neg_hi:[1,0,0]
	v_pk_fma_f32 v[198:199], v[136:137], v[152:153], v[138:139] op_sel:[0,0,1] op_sel_hi:[0,1,0]
	v_mov_b32_e32 v199, v165
	v_pk_add_f32 v[138:139], v[160:161], v[162:163] neg_lo:[0,1] neg_hi:[0,1]
	v_pk_add_f32 v[162:163], v[150:151], v[198:199] neg_lo:[0,1] neg_hi:[0,1]
	;; [unrolled: 1-line block ×3, first 2 shown]
	v_pk_add_f32 v[164:165], v[138:139], v[162:163]
	v_pk_add_f32 v[24:25], v[138:139], v[162:163] neg_lo:[0,1] neg_hi:[0,1]
	v_pk_add_f32 v[140:141], v[186:187], v[190:191] neg_lo:[0,1] neg_hi:[0,1]
	v_pk_fma_f32 v[150:151], v[150:151], 2.0, v[162:163] op_sel_hi:[1,0,1] neg_lo:[0,0,1] neg_hi:[0,0,1]
	v_mov_b32_e32 v25, v165
	v_pk_fma_f32 v[162:163], v[186:187], 2.0, v[140:141] op_sel_hi:[1,0,1] neg_lo:[0,0,1] neg_hi:[0,0,1]
	v_pk_add_f32 v[164:165], v[136:137], v[140:141] op_sel:[0,1] op_sel_hi:[1,0] neg_lo:[0,1] neg_hi:[0,1]
	v_pk_add_f32 v[140:141], v[136:137], v[140:141] op_sel:[0,1] op_sel_hi:[1,0]
	v_pk_fma_f32 v[132:133], v[132:133], 2.0, v[136:137] op_sel_hi:[1,0,1] neg_lo:[0,0,1] neg_hi:[0,0,1]
	v_mov_b32_e32 v165, v141
	v_pk_fma_f32 v[140:141], v[136:137], 2.0, v[164:165] op_sel_hi:[1,0,1] neg_lo:[0,0,1] neg_hi:[0,0,1]
	v_pk_add_f32 v[136:137], v[132:133], v[162:163] neg_lo:[0,1] neg_hi:[0,1]
	s_mov_b64 s[0:1], 0x1e00
	v_pk_fma_f32 v[132:133], v[132:133], 2.0, v[136:137] op_sel_hi:[1,0,1] neg_lo:[0,0,1] neg_hi:[0,0,1]
	ds_write_b64 v148, v[136:137] offset:5408
	v_lshl_add_u64 v[136:137], v[174:175], 0, s[0:1]
	global_load_dwordx2 v[38:39], v[136:137], off offset:16
	s_mov_b64 s[0:1], 0x22e0
	v_lshl_add_u64 v[136:137], v[174:175], 0, s[0:1]
	global_load_dwordx2 v[44:45], v[136:137], off offset:16
	v_mov_b32_e32 v193, v147
	v_mov_b32_e32 v195, v143
	;; [unrolled: 1-line block ×3, first 2 shown]
	ds_write_b64 v148, v[140:141] offset:2704
	v_pk_add_f32 v[136:137], v[134:135], v[194:195] neg_lo:[0,1] neg_hi:[0,1]
	v_pk_add_f32 v[140:141], v[192:193], v[196:197] neg_lo:[0,1] neg_hi:[0,1]
	v_pk_fma_f32 v[134:135], v[134:135], 2.0, v[136:137] op_sel_hi:[1,0,1] neg_lo:[0,0,1] neg_hi:[0,0,1]
	v_pk_fma_f32 v[142:143], v[192:193], 2.0, v[140:141] op_sel_hi:[1,0,1] neg_lo:[0,0,1] neg_hi:[0,0,1]
	ds_write_b64 v148, v[164:165] offset:8112
	v_pk_add_f32 v[142:143], v[134:135], v[142:143] neg_lo:[0,1] neg_hi:[0,1]
	v_accvgpr_write_b32 a101, v25
	v_pk_fma_f32 v[134:135], v[134:135], 2.0, v[142:143] op_sel_hi:[1,0,1] neg_lo:[0,0,1] neg_hi:[0,0,1]
	ds_write2_b64 v148, v[132:133], v[134:135] offset1:52
	v_pk_add_f32 v[132:133], v[136:137], v[140:141] op_sel:[0,1] op_sel_hi:[1,0] neg_lo:[0,1] neg_hi:[0,1]
	v_pk_add_f32 v[134:135], v[136:137], v[140:141] op_sel:[0,1] op_sel_hi:[1,0]
	v_accvgpr_write_b32 a100, v24
	v_mov_b32_e32 v133, v135
	v_pk_fma_f32 v[134:135], v[136:137], 2.0, v[132:133] op_sel_hi:[1,0,1] neg_lo:[0,0,1] neg_hi:[0,0,1]
	v_pk_mul_f32 v[136:137], v[128:129], v[60:61] op_sel:[0,1]
	v_mov_b32_e32 v24, v63
	v_pk_fma_f32 v[140:141], v[128:129], v[60:61], v[136:137] op_sel:[0,0,1] op_sel_hi:[1,1,0] neg_lo:[0,0,1] neg_hi:[0,0,1]
	v_pk_fma_f32 v[128:129], v[128:129], v[60:61], v[136:137] op_sel:[0,0,1] op_sel_hi:[1,0,0]
	ds_write_b64 v148, v[142:143] offset:5824
	v_mov_b32_e32 v141, v129
	v_pk_mul_f32 v[128:129], v[124:125], v[24:25] op_sel_hi:[1,0]
	s_waitcnt vmcnt(5)
	v_mov_b32_e32 v36, v71
	v_pk_fma_f32 v[136:137], v[124:125], v[62:63], v[128:129] op_sel:[0,0,1] op_sel_hi:[1,1,0] neg_lo:[0,0,1] neg_hi:[0,0,1]
	v_pk_fma_f32 v[124:125], v[124:125], v[62:63], v[128:129] op_sel:[0,0,1] op_sel_hi:[1,0,0]
	s_waitcnt vmcnt(4)
	v_mov_b32_e32 v46, v67
	v_mov_b32_e32 v137, v125
	v_pk_mul_f32 v[124:125], v[120:121], v[156:157] op_sel:[0,1]
	v_accvgpr_write_b32 a95, v51
	v_pk_fma_f32 v[128:129], v[120:121], v[156:157], v[124:125] op_sel:[0,0,1] op_sel_hi:[1,1,0] neg_lo:[0,0,1] neg_hi:[0,0,1]
	v_pk_fma_f32 v[120:121], v[120:121], v[156:157], v[124:125] op_sel:[0,0,1] op_sel_hi:[1,0,0]
	v_pk_add_f32 v[124:125], v[116:117], v[136:137] neg_lo:[0,1] neg_hi:[0,1]
	v_mov_b32_e32 v129, v121
	v_pk_add_f32 v[120:121], v[140:141], v[128:129] neg_lo:[0,1] neg_hi:[0,1]
	v_pk_fma_f32 v[116:117], v[116:117], 2.0, v[124:125] op_sel_hi:[1,0,1] neg_lo:[0,0,1] neg_hi:[0,0,1]
	v_pk_add_f32 v[128:129], v[124:125], v[120:121] op_sel:[0,1] op_sel_hi:[1,0] neg_lo:[0,1] neg_hi:[0,1]
	v_pk_add_f32 v[136:137], v[124:125], v[120:121] op_sel:[0,1] op_sel_hi:[1,0]
	v_accvgpr_write_b32 a94, v50
	v_mov_b32_e32 v129, v137
	v_pk_fma_f32 v[142:143], v[124:125], 2.0, v[128:129] op_sel_hi:[1,0,1] neg_lo:[0,0,1] neg_hi:[0,0,1]
	ds_write2_b64 v47, v[132:133], v[128:129] offset0:42 offset1:94
	v_pk_mul_f32 v[128:129], v[130:131], v[68:69] op_sel:[0,1]
	ds_write2_b64 v37, v[134:135], v[142:143] offset0:134 offset1:186
	v_pk_fma_f32 v[132:133], v[130:131], v[68:69], v[128:129] op_sel:[0,0,1] op_sel_hi:[1,1,0] neg_lo:[0,0,1] neg_hi:[0,0,1]
	v_pk_fma_f32 v[128:129], v[130:131], v[68:69], v[128:129] op_sel:[0,0,1] op_sel_hi:[1,0,0]
	v_pk_fma_f32 v[134:135], v[140:141], 2.0, v[120:121] op_sel_hi:[1,0,1] neg_lo:[0,0,1] neg_hi:[0,0,1]
	v_mov_b32_e32 v133, v129
	v_pk_mul_f32 v[128:129], v[126:127], v[36:37] op_sel_hi:[1,0]
	v_pk_add_f32 v[124:125], v[116:117], v[134:135] neg_lo:[0,1] neg_hi:[0,1]
	v_pk_fma_f32 v[130:131], v[126:127], v[70:71], v[128:129] op_sel:[0,0,1] op_sel_hi:[1,1,0] neg_lo:[0,0,1] neg_hi:[0,0,1]
	v_pk_fma_f32 v[126:127], v[126:127], v[70:71], v[128:129] op_sel:[0,0,1] op_sel_hi:[1,0,0]
	v_pk_fma_f32 v[116:117], v[116:117], 2.0, v[124:125] op_sel_hi:[1,0,1] neg_lo:[0,0,1] neg_hi:[0,0,1]
	v_mov_b32_e32 v131, v127
	s_waitcnt vmcnt(2)
	v_pk_mul_f32 v[126:127], v[122:123], v[34:35] op_sel:[0,1]
	v_add_u32_e32 v36, 0x1800, v148
	v_pk_fma_f32 v[128:129], v[122:123], v[34:35], v[126:127] op_sel:[0,0,1] op_sel_hi:[1,1,0] neg_lo:[0,0,1] neg_hi:[0,0,1]
	v_pk_fma_f32 v[122:123], v[122:123], v[34:35], v[126:127] op_sel:[0,0,1] op_sel_hi:[1,0,0]
	v_accvgpr_write_b32 a93, v49
	v_mov_b32_e32 v129, v123
	v_pk_add_f32 v[122:123], v[118:119], v[130:131] neg_lo:[0,1] neg_hi:[0,1]
	v_pk_add_f32 v[126:127], v[132:133], v[128:129] neg_lo:[0,1] neg_hi:[0,1]
	v_pk_fma_f32 v[118:119], v[118:119], 2.0, v[122:123] op_sel_hi:[1,0,1] neg_lo:[0,0,1] neg_hi:[0,0,1]
	v_pk_fma_f32 v[128:129], v[132:133], 2.0, v[126:127] op_sel_hi:[1,0,1] neg_lo:[0,0,1] neg_hi:[0,0,1]
	v_accvgpr_write_b32 a92, v48
	v_pk_add_f32 v[128:129], v[118:119], v[128:129] neg_lo:[0,1] neg_hi:[0,1]
	v_mov_b32_e32 v48, v55
	v_pk_fma_f32 v[118:119], v[118:119], 2.0, v[128:129] op_sel_hi:[1,0,1] neg_lo:[0,0,1] neg_hi:[0,0,1]
	ds_write2_b64 v148, v[116:117], v[118:119] offset0:104 offset1:156
	v_pk_add_f32 v[116:117], v[122:123], v[126:127] op_sel:[0,1] op_sel_hi:[1,0] neg_lo:[0,1] neg_hi:[0,1]
	v_pk_add_f32 v[118:119], v[122:123], v[126:127] op_sel:[0,1] op_sel_hi:[1,0]
	v_add_u32_e32 v55, 0xc00, v148
	v_mov_b32_e32 v117, v119
	v_pk_fma_f32 v[118:119], v[122:123], 2.0, v[116:117] op_sel_hi:[1,0,1] neg_lo:[0,0,1] neg_hi:[0,0,1]
	ds_write2_b64 v36, v[124:125], v[128:129] offset0:12 offset1:64
	ds_write_b64 v148, v[116:117] offset:9360
	v_pk_mul_f32 v[116:117], v[112:113], v[64:65] op_sel:[0,1]
	s_waitcnt vmcnt(1)
	v_accvgpr_write_b32 a127, v39
	v_pk_fma_f32 v[122:123], v[112:113], v[64:65], v[116:117] op_sel:[0,0,1] op_sel_hi:[1,1,0] neg_lo:[0,0,1] neg_hi:[0,0,1]
	v_pk_fma_f32 v[112:113], v[112:113], v[64:65], v[116:117] op_sel:[0,0,1] op_sel_hi:[1,0,0]
	v_pk_fma_f32 v[120:121], v[160:161], 2.0, v[138:139] op_sel_hi:[1,0,1] neg_lo:[0,0,1] neg_hi:[0,0,1]
	v_mov_b32_e32 v123, v113
	v_pk_mul_f32 v[112:113], v[108:109], v[46:47] op_sel_hi:[1,0]
	v_accvgpr_write_b32 a126, v38
	v_pk_fma_f32 v[116:117], v[108:109], v[66:67], v[112:113] op_sel:[0,0,1] op_sel_hi:[1,1,0] neg_lo:[0,0,1] neg_hi:[0,0,1]
	v_pk_fma_f32 v[108:109], v[108:109], v[66:67], v[112:113] op_sel:[0,0,1] op_sel_hi:[1,0,0]
	v_pk_add_f32 v[24:25], v[120:121], v[150:151] op_sel:[0,1] op_sel_hi:[1,0] neg_lo:[0,1] neg_hi:[0,1]
	v_mov_b32_e32 v117, v109
	v_pk_mul_f32 v[108:109], v[104:105], v[38:39] op_sel:[0,1]
	v_mov_b32_e32 v229, v228
	v_pk_fma_f32 v[112:113], v[104:105], v[38:39], v[108:109] op_sel:[0,0,1] op_sel_hi:[1,1,0] neg_lo:[0,0,1] neg_hi:[0,0,1]
	v_pk_fma_f32 v[104:105], v[104:105], v[38:39], v[108:109] op_sel:[0,0,1] op_sel_hi:[1,0,0]
	v_add_u32_e32 v38, 0x400, v148
	v_mov_b32_e32 v113, v105
	v_pk_add_f32 v[104:105], v[100:101], v[116:117] neg_lo:[0,1] neg_hi:[0,1]
	v_pk_add_f32 v[108:109], v[122:123], v[112:113] neg_lo:[0,1] neg_hi:[0,1]
	v_pk_fma_f32 v[100:101], v[100:101], 2.0, v[104:105] op_sel_hi:[1,0,1] neg_lo:[0,0,1] neg_hi:[0,0,1]
	v_pk_fma_f32 v[112:113], v[122:123], 2.0, v[108:109] op_sel_hi:[1,0,1] neg_lo:[0,0,1] neg_hi:[0,0,1]
	v_pk_add_f32 v[116:117], v[104:105], v[108:109] op_sel:[0,1] op_sel_hi:[1,0] neg_lo:[0,1] neg_hi:[0,1]
	v_pk_add_f32 v[108:109], v[104:105], v[108:109] op_sel:[0,1] op_sel_hi:[1,0]
	v_pk_add_f32 v[112:113], v[100:101], v[112:113] neg_lo:[0,1] neg_hi:[0,1]
	v_mov_b32_e32 v117, v109
	v_pk_fma_f32 v[104:105], v[104:105], 2.0, v[116:117] op_sel_hi:[1,0,1] neg_lo:[0,0,1] neg_hi:[0,0,1]
	ds_write2_b64 v55, v[118:119], v[104:105] offset0:110 offset1:162
	v_pk_mul_f32 v[104:105], v[114:115], v[52:53] op_sel:[0,1]
	v_pk_fma_f32 v[100:101], v[100:101], 2.0, v[112:113] op_sel_hi:[1,0,1] neg_lo:[0,0,1] neg_hi:[0,0,1]
	v_pk_fma_f32 v[108:109], v[114:115], v[52:53], v[104:105] op_sel:[0,0,1] op_sel_hi:[1,1,0] neg_lo:[0,0,1] neg_hi:[0,0,1]
	v_pk_fma_f32 v[104:105], v[114:115], v[52:53], v[104:105] op_sel:[0,0,1] op_sel_hi:[1,0,0]
	v_accvgpr_write_b32 a140, v228
	v_mov_b32_e32 v109, v105
	v_pk_mul_f32 v[104:105], v[110:111], v[48:49] op_sel_hi:[1,0]
	v_mov_b32_e32 v227, v226
	v_pk_fma_f32 v[114:115], v[110:111], v[54:55], v[104:105] op_sel:[0,0,1] op_sel_hi:[1,1,0] neg_lo:[0,0,1] neg_hi:[0,0,1]
	v_pk_fma_f32 v[104:105], v[110:111], v[54:55], v[104:105] op_sel:[0,0,1] op_sel_hi:[1,0,0]
	v_accvgpr_write_b32 a136, v226
	v_mov_b32_e32 v115, v105
	s_waitcnt vmcnt(0)
	v_pk_mul_f32 v[104:105], v[106:107], v[44:45] op_sel:[0,1]
	v_accvgpr_write_b32 a98, v154
	v_pk_fma_f32 v[110:111], v[106:107], v[44:45], v[104:105] op_sel:[0,0,1] op_sel_hi:[1,1,0] neg_lo:[0,0,1] neg_hi:[0,0,1]
	v_pk_fma_f32 v[104:105], v[106:107], v[44:45], v[104:105] op_sel:[0,0,1] op_sel_hi:[1,0,0]
	v_accvgpr_write_b32 a96, v152
	v_mov_b32_e32 v111, v105
	v_pk_add_f32 v[104:105], v[102:103], v[114:115] neg_lo:[0,1] neg_hi:[0,1]
	v_pk_add_f32 v[106:107], v[108:109], v[110:111] neg_lo:[0,1] neg_hi:[0,1]
	v_pk_fma_f32 v[102:103], v[102:103], 2.0, v[104:105] op_sel_hi:[1,0,1] neg_lo:[0,0,1] neg_hi:[0,0,1]
	v_pk_fma_f32 v[108:109], v[108:109], 2.0, v[106:107] op_sel_hi:[1,0,1] neg_lo:[0,0,1] neg_hi:[0,0,1]
	v_accvgpr_write_b32 a102, v156
	v_pk_add_f32 v[108:109], v[102:103], v[108:109] neg_lo:[0,1] neg_hi:[0,1]
	v_accvgpr_write_b32 a113, v25
	v_pk_fma_f32 v[102:103], v[102:103], 2.0, v[108:109] op_sel_hi:[1,0,1] neg_lo:[0,0,1] neg_hi:[0,0,1]
	ds_write2_b64 v38, v[100:101], v[102:103] offset0:80 offset1:132
	v_pk_add_f32 v[100:101], v[104:105], v[106:107] op_sel:[0,1] op_sel_hi:[1,0] neg_lo:[0,1] neg_hi:[0,1]
	v_pk_add_f32 v[102:103], v[104:105], v[106:107] op_sel:[0,1] op_sel_hi:[1,0]
	v_accvgpr_write_b32 a121, v35
	v_accvgpr_write_b32 a129, v45
	v_mov_b32_e32 v101, v103
	v_add_u32_e32 v182, 0x680, v203
	v_add_u32_e32 v181, 0x9c0, v203
	;; [unrolled: 1-line block ×4, first 2 shown]
	v_lshlrev_b32_e32 v178, 4, v3
	v_add_u32_e32 v177, 0x16c0, v203
	v_add_u32_e32 v176, 0x1a00, v203
	;; [unrolled: 1-line block ×4, first 2 shown]
	v_mov_b32_e32 v3, v2
	v_mov_b32_e32 v207, v206
	;; [unrolled: 1-line block ×17, first 2 shown]
	v_accvgpr_read_b32 v26, a24
	v_accvgpr_read_b32 v27, a24
	v_mov_b32_e32 v95, v94
	v_mov_b32_e32 v88, v89
	;; [unrolled: 1-line block ×5, first 2 shown]
	v_accvgpr_write_b32 a135, v223
	v_mov_b32_e32 v80, v81
	v_mov_b32_e32 v79, v78
	;; [unrolled: 1-line block ×3, first 2 shown]
	v_accvgpr_write_b32 a141, v229
	v_accvgpr_write_b32 a137, v227
	v_mov_b32_e32 v76, v77
	v_accvgpr_mov_b32 a80, a70
	v_accvgpr_mov_b32 a81, a70
	;; [unrolled: 1-line block ×6, first 2 shown]
	v_mov_b32_e32 v40, v41
	v_mov_b32_e32 v43, v42
	v_accvgpr_mov_b32 a79, a78
	v_accvgpr_write_b32 a110, v57
	v_accvgpr_write_b32 a108, v59
	;; [unrolled: 1-line block ×18, first 2 shown]
	v_pk_fma_f32 v[102:103], v[104:105], 2.0, v[100:101] op_sel_hi:[1,0,1] neg_lo:[0,0,1] neg_hi:[0,0,1]
	ds_write_b64 v148, v[102:103] offset:4784
	ds_write2_b64 v36, v[112:113], v[108:109] offset0:116 offset1:168
	ds_write2_b64 v47, v[116:117], v[100:101] offset0:198 offset1:250
	s_and_saveexec_b64 s[0:1], vcc
	s_cbranch_execz .LBB0_5
; %bb.4:
	v_accvgpr_read_b32 v34, a112
	v_accvgpr_read_b32 v35, a113
	;; [unrolled: 1-line block ×3, first 2 shown]
	v_pk_fma_f32 v[100:101], v[120:121], 2.0, v[34:35] op_sel_hi:[1,0,1] neg_lo:[0,0,1] neg_hi:[0,0,1]
	v_accvgpr_read_b32 v25, a101
	ds_write_b64 v148, v[100:101] offset:2496
	v_pk_fma_f32 v[100:101], v[138:139], 2.0, v[24:25] op_sel_hi:[1,0,1] neg_lo:[0,0,1] neg_hi:[0,0,1]
	ds_write_b64 v148, v[100:101] offset:5200
	ds_write_b64 v148, a[112:113] offset:7904
	;; [unrolled: 1-line block ×3, first 2 shown]
.LBB0_5:
	s_or_b64 exec, exec, s[0:1]
	s_add_u32 s2, s8, 0x2a40
	s_addc_u32 s3, s9, 0
	v_lshlrev_b32_e32 v104, 3, v172
	s_waitcnt lgkmcnt(0)
	; wave barrier
	s_waitcnt lgkmcnt(0)
	global_load_dwordx2 v[110:111], v104, s[2:3]
	global_load_dwordx2 v[112:113], v104, s[2:3] offset:416
	v_mov_b32_e32 v105, 0
	v_lshl_add_u64 v[108:109], s[2:3], 0, v[104:105]
	v_add_co_u32_e64 v106, s[0:1], s11, v108
	v_add_u32_e32 v53, 0x1400, v148
	s_nop 0
	v_addc_co_u32_e64 v107, s[0:1], 0, v109, s[0:1]
	global_load_dwordx2 v[114:115], v[106:107], off offset:1728
	global_load_dwordx2 v[118:119], v[106:107], off offset:2144
	global_load_dwordx2 v[116:117], v104, s[2:3] offset:832
	global_load_dwordx2 v[120:121], v104, s[2:3] offset:1248
	global_load_dwordx2 v[122:123], v202, s[2:3]
	global_load_dwordx2 v[132:133], v[106:107], off offset:2976
	global_load_dwordx2 v[130:131], v104, s[2:3] offset:1664
	global_load_dwordx2 v[126:127], v104, s[2:3] offset:2080
	ds_read2_b64 v[100:103], v148 offset1:52
	global_load_dwordx2 v[124:125], v[106:107], off offset:1312
	v_add_co_u32_e64 v108, s[0:1], s10, v108
	v_add_u32_e32 v149, 0x1000, v148
	s_nop 0
	v_addc_co_u32_e64 v109, s[0:1], 0, v109, s[0:1]
	s_mov_b32 s30, 0xbeedf032
	s_mov_b32 s0, 0x3f62ad3f
	;; [unrolled: 1-line block ×15, first 2 shown]
	v_mov_b32_e32 v57, v208
	s_mov_b32 s40, 0x3e750f2a
	s_mov_b32 s38, 0x3f52af12
	v_accvgpr_write_b32 a24, v172
	v_mov_b32_e32 v65, v37
	v_mov_b32_e32 v59, v36
	;; [unrolled: 1-line block ×4, first 2 shown]
	s_mov_b32 s44, s8
	s_mov_b32 s45, s20
	s_mov_b32 s46, s18
	s_mov_b32 s47, s22
	v_mov_b32_e32 v73, v72
	v_mov_b32_e32 v75, v74
	;; [unrolled: 1-line block ×5, first 2 shown]
	s_waitcnt vmcnt(10) lgkmcnt(0)
	v_mul_f32_e32 v24, v101, v111
	v_mul_f32_e32 v129, v100, v111
	v_fma_f32 v128, v100, v110, -v24
	v_fmac_f32_e32 v129, v101, v110
	ds_write_b64 v148, v[128:129]
	s_waitcnt vmcnt(9)
	v_mul_f32_e32 v25, v103, v113
	ds_read2_b64 v[138:141], v53 offset0:88 offset1:140
	v_mul_f32_e32 v129, v102, v113
	v_fma_f32 v128, v102, v112, -v25
	v_fmac_f32_e32 v129, v103, v112
	ds_read2_b64 v[100:103], v148 offset0:104 offset1:156
	s_waitcnt vmcnt(8) lgkmcnt(1)
	v_mul_f32_e32 v24, v139, v115
	v_mul_f32_e32 v135, v138, v115
	s_waitcnt vmcnt(7)
	v_mul_f32_e32 v25, v141, v119
	ds_read2_b64 v[110:113], v36 offset0:64 offset1:116
	v_fma_f32 v134, v138, v114, -v24
	v_mul_f32_e32 v115, v140, v119
	v_fmac_f32_e32 v135, v139, v114
	v_fma_f32 v114, v140, v118, -v25
	s_waitcnt vmcnt(6) lgkmcnt(1)
	v_mul_f32_e32 v24, v101, v117
	v_mul_f32_e32 v119, v100, v117
	s_waitcnt vmcnt(5)
	v_mul_f32_e32 v25, v103, v121
	v_mul_f32_e32 v117, v102, v121
	v_fmac_f32_e32 v115, v141, v118
	v_fma_f32 v118, v100, v116, -v24
	v_fmac_f32_e32 v119, v101, v116
	v_fma_f32 v116, v102, v120, -v25
	v_fmac_f32_e32 v117, v103, v120
	global_load_dwordx2 v[120:121], v[106:107], off offset:64
	global_load_dwordx2 v[138:139], v[106:107], off offset:480
	;; [unrolled: 1-line block ×3, first 2 shown]
	ds_read2_b64 v[100:103], v38 offset0:80 offset1:132
	s_waitcnt vmcnt(7) lgkmcnt(1)
	v_mul_f32_e32 v24, v111, v123
	v_mul_f32_e32 v143, v110, v123
	v_fma_f32 v142, v110, v122, -v24
	s_waitcnt vmcnt(6)
	v_mul_f32_e32 v24, v113, v133
	v_fmac_f32_e32 v143, v111, v122
	v_mul_f32_e32 v111, v112, v133
	v_fma_f32 v110, v112, v132, -v24
	s_waitcnt vmcnt(5) lgkmcnt(0)
	v_mul_f32_e32 v24, v101, v131
	v_fmac_f32_e32 v111, v113, v132
	v_fma_f32 v132, v100, v130, -v24
	v_mul_f32_e32 v133, v100, v131
	s_waitcnt vmcnt(4)
	v_mul_f32_e32 v24, v103, v127
	v_mul_f32_e32 v131, v102, v127
	global_load_dwordx2 v[112:113], v104, s[2:3] offset:2496
	global_load_dwordx2 v[122:123], v104, s[2:3] offset:2912
	v_fmac_f32_e32 v133, v101, v130
	v_fma_f32 v130, v102, v126, -v24
	v_fmac_f32_e32 v131, v103, v126
	global_load_dwordx2 v[126:127], v[106:107], off offset:3392
	s_nop 0
	global_load_dwordx2 v[106:107], v[106:107], off offset:3808
	s_nop 0
	global_load_dwordx2 v[146:147], v[108:109], off offset:128
	global_load_dwordx2 v[150:151], v[108:109], off offset:544
	ds_read2_b64 v[100:103], v36 offset0:168 offset1:220
	s_waitcnt vmcnt(3) lgkmcnt(0)
	v_mul_f32_e32 v24, v101, v127
	v_fma_f32 v160, v100, v126, -v24
	v_mul_f32_e32 v161, v100, v127
	s_waitcnt vmcnt(2)
	v_mul_f32_e32 v24, v103, v107
	v_mul_f32_e32 v127, v102, v107
	v_fmac_f32_e32 v161, v101, v126
	v_fma_f32 v126, v102, v106, -v24
	v_fmac_f32_e32 v127, v103, v106
	ds_read2_b64 v[100:103], v37 offset0:56 offset1:108
	s_waitcnt lgkmcnt(0)
	v_mul_f32_e32 v24, v101, v113
	v_fma_f32 v106, v100, v112, -v24
	v_mul_f32_e32 v107, v100, v113
	v_mul_f32_e32 v24, v103, v123
	;; [unrolled: 1-line block ×3, first 2 shown]
	v_fmac_f32_e32 v107, v101, v112
	v_fma_f32 v112, v102, v122, -v24
	v_fmac_f32_e32 v113, v103, v122
	ds_read2_b64 v[100:103], v149 offset0:112 offset1:164
	s_waitcnt lgkmcnt(0)
	v_mul_f32_e32 v24, v103, v125
	v_mul_f32_e32 v123, v102, v125
	v_fma_f32 v122, v102, v124, -v24
	v_fmac_f32_e32 v123, v103, v124
	ds_write2_b64 v149, v[122:123], v[134:135] offset0:164 offset1:216
	ds_write2_b64 v148, v[128:129], v[118:119] offset0:52 offset1:104
	;; [unrolled: 1-line block ×3, first 2 shown]
	global_load_dwordx2 v[114:115], v104, s[2:3] offset:3328
	global_load_dwordx2 v[118:119], v104, s[2:3] offset:3744
	global_load_dwordx2 v[122:123], v[108:109], off offset:960
	ds_write2_b64 v148, v[116:117], v[132:133] offset0:156 offset1:208
	global_load_dwordx2 v[116:117], v[108:109], off offset:1376
	global_load_dwordx2 v[124:125], v[108:109], off offset:1792
	;; [unrolled: 1-line block ×3, first 2 shown]
	ds_read2_b64 v[102:105], v47 offset0:16 offset1:68
	ds_write2_b64 v37, v[130:131], v[106:107] offset0:4 offset1:56
	ds_write2_b64 v36, v[110:111], v[160:161] offset0:116 offset1:168
	s_mov_b32 s2, 0x3f116cb1
	s_waitcnt vmcnt(7) lgkmcnt(2)
	v_mul_f32_e32 v24, v103, v147
	v_mul_f32_e32 v107, v102, v147
	v_fma_f32 v106, v102, v146, -v24
	v_fmac_f32_e32 v107, v103, v146
	v_add_u32_e32 v24, 0x1c00, v148
	ds_write2_b64 v24, v[126:127], v[106:107] offset0:92 offset1:144
	ds_read2_b64 v[106:109], v37 offset0:160 offset1:212
	v_accvgpr_write_b32 a107, v24
	s_waitcnt vmcnt(6)
	v_mul_f32_e32 v111, v104, v151
	v_fmac_f32_e32 v111, v105, v150
	s_waitcnt vmcnt(5) lgkmcnt(0)
	v_mul_f32_e32 v24, v107, v115
	v_mul_f32_e32 v103, v106, v115
	v_fma_f32 v102, v106, v114, -v24
	v_fmac_f32_e32 v103, v107, v114
	v_mul_f32_e32 v24, v105, v151
	ds_write2_b64 v37, v[112:113], v[102:103] offset0:108 offset1:160
	v_fma_f32 v110, v104, v150, -v24
	ds_read2_b64 v[102:105], v47 offset0:120 offset1:172
	s_waitcnt vmcnt(4)
	v_mul_f32_e32 v24, v109, v119
	v_mul_f32_e32 v113, v108, v119
	v_fma_f32 v112, v108, v118, -v24
	v_fmac_f32_e32 v113, v109, v118
	ds_read2_b64 v[106:109], v149 offset0:8 offset1:60
	s_waitcnt vmcnt(3) lgkmcnt(1)
	v_mul_f32_e32 v24, v103, v123
	v_mul_f32_e32 v115, v102, v123
	v_fma_f32 v114, v102, v122, -v24
	v_fmac_f32_e32 v115, v103, v122
	s_waitcnt lgkmcnt(0)
	v_mul_f32_e32 v24, v107, v121
	v_mul_f32_e32 v103, v106, v121
	v_fma_f32 v102, v106, v120, -v24
	v_fmac_f32_e32 v103, v107, v120
	ds_write2_b64 v55, v[112:113], v[102:103] offset0:84 offset1:136
	s_waitcnt vmcnt(2)
	v_mul_f32_e32 v24, v105, v117
	v_mul_f32_e32 v107, v104, v117
	v_add_u32_e32 v55, 0x2400, v148
	v_fma_f32 v106, v104, v116, -v24
	v_fmac_f32_e32 v107, v105, v116
	ds_read2_b64 v[102:105], v55 offset0:96 offset1:148
	ds_write2_b64 v47, v[110:111], v[114:115] offset0:68 offset1:120
	v_mul_f32_e32 v24, v109, v139
	v_mul_f32_e32 v111, v108, v139
	v_fma_f32 v110, v108, v138, -v24
	v_fmac_f32_e32 v111, v109, v138
	s_waitcnt vmcnt(1) lgkmcnt(1)
	v_mul_f32_e32 v24, v103, v125
	v_mul_f32_e32 v109, v102, v125
	v_fma_f32 v108, v102, v124, -v24
	v_fmac_f32_e32 v109, v103, v124
	v_mul_f32_e32 v24, v101, v141
	v_mul_f32_e32 v103, v100, v141
	v_fma_f32 v102, v100, v140, -v24
	v_fmac_f32_e32 v103, v101, v140
	s_waitcnt vmcnt(0)
	v_mul_f32_e32 v24, v105, v129
	v_mul_f32_e32 v101, v104, v129
	v_fma_f32 v100, v104, v128, -v24
	v_fmac_f32_e32 v101, v105, v128
	ds_write2_b64 v47, v[106:107], v[108:109] offset0:172 offset1:224
	ds_write2_b64 v149, v[110:111], v[102:103] offset0:60 offset1:112
	ds_write_b64 v148, v[100:101] offset:10400
	s_waitcnt lgkmcnt(0)
	; wave barrier
	s_waitcnt lgkmcnt(0)
	ds_read2_b64 v[100:103], v148 offset1:52
	ds_read2_b64 v[104:107], v53 offset0:88 offset1:140
	ds_read2_b64 v[108:111], v148 offset0:104 offset1:156
	ds_read2_b64 v[112:115], v149 offset0:112 offset1:164
	ds_read2_b64 v[116:119], v36 offset0:64 offset1:116
	ds_read2_b64 v[120:123], v38 offset0:80 offset1:132
	ds_read2_b64 v[124:127], v36 offset0:168 offset1:220
	ds_read2_b64 v[128:131], v37 offset0:56 offset1:108
	s_waitcnt lgkmcnt(4)
	v_pk_add_f32 v[134:135], v[100:101], v[114:115] neg_lo:[0,1] neg_hi:[0,1]
	ds_read2_b64 v[138:141], v47 offset0:16 offset1:68
	ds_read2_b64 v[160:163], v37 offset0:160 offset1:212
	;; [unrolled: 1-line block ×5, first 2 shown]
	v_pk_fma_f32 v[132:133], v[100:101], 2.0, v[134:135] op_sel_hi:[1,0,1] neg_lo:[0,0,1] neg_hi:[0,0,1]
	v_accvgpr_read_b32 v24, a23
	v_pk_add_f32 v[104:105], v[102:103], v[104:105] neg_lo:[0,1] neg_hi:[0,1]
	s_waitcnt lgkmcnt(0)
	; wave barrier
	s_waitcnt lgkmcnt(0)
	ds_write_b128 v24, v[132:135]
	v_pk_fma_f32 v[102:103], v[102:103], 2.0, v[104:105] op_sel_hi:[1,0,1] neg_lo:[0,0,1] neg_hi:[0,0,1]
	v_accvgpr_read_b32 v24, a25
	ds_write_b128 v24, v[102:105]
	v_pk_add_f32 v[102:103], v[108:109], v[106:107] neg_lo:[0,1] neg_hi:[0,1]
	v_pk_add_f32 v[106:107], v[120:121], v[118:119] neg_lo:[0,1] neg_hi:[0,1]
	v_pk_fma_f32 v[100:101], v[108:109], 2.0, v[102:103] op_sel_hi:[1,0,1] neg_lo:[0,0,1] neg_hi:[0,0,1]
	ds_write_b128 v182, v[100:103]
	v_pk_add_f32 v[102:103], v[110:111], v[116:117] neg_lo:[0,1] neg_hi:[0,1]
	v_pk_add_f32 v[116:117], v[128:129], v[126:127] neg_lo:[0,1] neg_hi:[0,1]
	v_pk_fma_f32 v[100:101], v[110:111], 2.0, v[102:103] op_sel_hi:[1,0,1] neg_lo:[0,0,1] neg_hi:[0,0,1]
	v_pk_fma_f32 v[104:105], v[120:121], 2.0, v[106:107] op_sel_hi:[1,0,1] neg_lo:[0,0,1] neg_hi:[0,0,1]
	v_pk_add_f32 v[110:111], v[122:123], v[124:125] neg_lo:[0,1] neg_hi:[0,1]
	v_pk_fma_f32 v[114:115], v[128:129], 2.0, v[116:117] op_sel_hi:[1,0,1] neg_lo:[0,0,1] neg_hi:[0,0,1]
	v_pk_add_f32 v[120:121], v[130:131], v[138:139] neg_lo:[0,1] neg_hi:[0,1]
	v_pk_add_f32 v[124:125], v[160:161], v[140:141] neg_lo:[0,1] neg_hi:[0,1]
	;; [unrolled: 1-line block ×5, first 2 shown]
	v_pk_fma_f32 v[118:119], v[130:131], 2.0, v[120:121] op_sel_hi:[1,0,1] neg_lo:[0,0,1] neg_hi:[0,0,1]
	v_pk_fma_f32 v[126:127], v[162:163], 2.0, v[128:129] op_sel_hi:[1,0,1] neg_lo:[0,0,1] neg_hi:[0,0,1]
	;; [unrolled: 1-line block ×4, first 2 shown]
	v_pk_add_f32 v[162:163], v[112:113], v[194:195] neg_lo:[0,1] neg_hi:[0,1]
	v_pk_fma_f32 v[108:109], v[122:123], 2.0, v[110:111] op_sel_hi:[1,0,1] neg_lo:[0,0,1] neg_hi:[0,0,1]
	v_pk_fma_f32 v[122:123], v[160:161], 2.0, v[124:125] op_sel_hi:[1,0,1] neg_lo:[0,0,1] neg_hi:[0,0,1]
	;; [unrolled: 1-line block ×3, first 2 shown]
	ds_write_b128 v181, v[100:103]
	ds_write_b128 v180, v[104:107]
	;; [unrolled: 1-line block ×10, first 2 shown]
	s_waitcnt lgkmcnt(0)
	; wave barrier
	s_waitcnt lgkmcnt(0)
	ds_read2_b64 v[100:103], v148 offset0:104 offset1:156
	ds_read2_b64 v[104:107], v37 offset0:160 offset1:212
	;; [unrolled: 1-line block ×10, first 2 shown]
	s_waitcnt lgkmcnt(8)
	v_pk_mul_f32 v[110:111], v[206:207], v[106:107]
	s_waitcnt lgkmcnt(6)
	v_pk_mul_f32 v[112:113], v[32:33], v[120:121]
	v_pk_fma_f32 v[108:109], v[2:3], v[106:107], v[110:111] op_sel:[0,0,1] op_sel_hi:[1,1,0]
	v_pk_fma_f32 v[24:25], v[2:3], v[106:107], v[110:111] op_sel:[0,0,1] op_sel_hi:[1,1,0] neg_lo:[0,0,1] neg_hi:[0,0,1]
	v_pk_fma_f32 v[106:107], v[14:15], v[120:121], v[112:113] op_sel:[0,0,1] op_sel_hi:[1,1,0]
	v_mov_b32_e32 v109, v25
	v_pk_fma_f32 v[24:25], v[14:15], v[120:121], v[112:113] op_sel:[0,0,1] op_sel_hi:[1,1,0] neg_lo:[0,0,1] neg_hi:[0,0,1]
	v_pk_mul_f32 v[120:121], v[32:33], v[118:119]
	v_mov_b32_e32 v107, v25
	v_pk_fma_f32 v[128:129], v[14:15], v[118:119], v[120:121] op_sel:[0,0,1] op_sel_hi:[1,1,0]
	v_pk_fma_f32 v[120:121], v[14:15], v[118:119], v[120:121] op_sel:[0,0,1] op_sel_hi:[1,1,0] neg_lo:[0,0,1] neg_hi:[0,0,1]
	v_pk_mul_f32 v[118:119], v[12:13], v[116:117]
	v_pk_mul_f32 v[12:13], v[12:13], v[114:115]
	v_pk_fma_f32 v[14:15], v[214:215], v[116:117], v[118:119] op_sel:[0,0,1] op_sel_hi:[1,1,0]
	v_pk_fma_f32 v[134:135], v[214:215], v[114:115], v[12:13] op_sel:[0,0,1] op_sel_hi:[1,1,0]
	v_pk_fma_f32 v[142:143], v[214:215], v[114:115], v[12:13] op_sel:[0,0,1] op_sel_hi:[1,1,0] neg_lo:[0,0,1] neg_hi:[0,0,1]
	s_waitcnt lgkmcnt(4)
	v_pk_mul_f32 v[12:13], v[200:201], v[140:141]
	v_pk_fma_f32 v[118:119], v[214:215], v[116:117], v[118:119] op_sel:[0,0,1] op_sel_hi:[1,1,0] neg_lo:[0,0,1] neg_hi:[0,0,1]
	v_pk_fma_f32 v[114:115], v[10:11], v[140:141], v[12:13] op_sel:[0,0,1] op_sel_hi:[1,1,0]
	v_pk_fma_f32 v[122:123], v[10:11], v[140:141], v[12:13] op_sel:[0,0,1] op_sel_hi:[1,1,0] neg_lo:[0,0,1] neg_hi:[0,0,1]
	v_pk_mul_f32 v[12:13], v[200:201], v[138:139]
	v_mov_b32_e32 v129, v121
	v_pk_fma_f32 v[124:125], v[10:11], v[138:139], v[12:13] op_sel:[0,0,1] op_sel_hi:[1,1,0]
	v_pk_fma_f32 v[138:139], v[10:11], v[138:139], v[12:13] op_sel:[0,0,1] op_sel_hi:[1,1,0] neg_lo:[0,0,1] neg_hi:[0,0,1]
	v_pk_mul_f32 v[10:11], v[8:9], v[132:133]
	v_pk_mul_f32 v[8:9], v[8:9], v[130:131]
	v_pk_fma_f32 v[12:13], v[210:211], v[132:133], v[10:11] op_sel:[0,0,1] op_sel_hi:[1,1,0]
	v_pk_fma_f32 v[126:127], v[210:211], v[132:133], v[10:11] op_sel:[0,0,1] op_sel_hi:[1,1,0] neg_lo:[0,0,1] neg_hi:[0,0,1]
	v_pk_fma_f32 v[140:141], v[210:211], v[130:131], v[8:9] op_sel:[0,0,1] op_sel_hi:[1,1,0]
	v_pk_fma_f32 v[132:133], v[210:211], v[130:131], v[8:9] op_sel:[0,0,1] op_sel_hi:[1,1,0] neg_lo:[0,0,1] neg_hi:[0,0,1]
	s_waitcnt lgkmcnt(2)
	v_pk_mul_f32 v[8:9], v[220:221], v[168:169]
	v_mov_b32_e32 v141, v133
	v_pk_fma_f32 v[116:117], v[22:23], v[168:169], v[8:9] op_sel:[0,0,1] op_sel_hi:[1,1,0]
	v_pk_fma_f32 v[130:131], v[22:23], v[168:169], v[8:9] op_sel:[0,0,1] op_sel_hi:[1,1,0] neg_lo:[0,0,1] neg_hi:[0,0,1]
	v_pk_mul_f32 v[8:9], v[220:221], v[166:167]
	v_mov_b32_e32 v125, v139
	v_pk_fma_f32 v[146:147], v[22:23], v[166:167], v[8:9] op_sel:[0,0,1] op_sel_hi:[1,1,0]
	v_pk_fma_f32 v[150:151], v[22:23], v[166:167], v[8:9] op_sel:[0,0,1] op_sel_hi:[1,1,0] neg_lo:[0,0,1] neg_hi:[0,0,1]
	v_pk_mul_f32 v[8:9], v[20:21], v[164:165]
	ds_read2_b64 v[166:169], v37 offset0:56 offset1:108
	v_pk_fma_f32 v[22:23], v[216:217], v[164:165], v[8:9] op_sel:[0,0,1] op_sel_hi:[1,1,0]
	v_pk_fma_f32 v[160:161], v[216:217], v[164:165], v[8:9] op_sel:[0,0,1] op_sel_hi:[1,1,0] neg_lo:[0,0,1] neg_hi:[0,0,1]
	v_pk_mul_f32 v[8:9], v[20:21], v[162:163]
	v_mov_b32_e32 v135, v143
	v_pk_fma_f32 v[170:171], v[216:217], v[162:163], v[8:9] op_sel:[0,0,1] op_sel_hi:[1,1,0]
	v_pk_fma_f32 v[182:183], v[216:217], v[162:163], v[8:9] op_sel:[0,0,1] op_sel_hi:[1,1,0] neg_lo:[0,0,1] neg_hi:[0,0,1]
	s_waitcnt lgkmcnt(1)
	v_pk_mul_f32 v[8:9], v[26:27], v[180:181]
	ds_read2_b64 v[162:165], v38 offset0:80 offset1:132
	v_pk_fma_f32 v[20:21], v[18:19], v[180:181], v[8:9] op_sel:[0,0,1] op_sel_hi:[1,1,0]
	v_pk_fma_f32 v[112:113], v[18:19], v[180:181], v[8:9] op_sel:[0,0,1] op_sel_hi:[1,1,0] neg_lo:[0,0,1] neg_hi:[0,0,1]
	v_pk_mul_f32 v[8:9], v[26:27], v[178:179]
	v_mov_b32_e32 v171, v183
	v_pk_fma_f32 v[180:181], v[18:19], v[178:179], v[8:9] op_sel:[0,0,1] op_sel_hi:[1,1,0]
	v_pk_fma_f32 v[178:179], v[18:19], v[178:179], v[8:9] op_sel:[0,0,1] op_sel_hi:[1,1,0] neg_lo:[0,0,1] neg_hi:[0,0,1]
	v_pk_mul_f32 v[8:9], v[16:17], v[176:177]
	v_mov_b32_e32 v147, v151
	v_pk_fma_f32 v[18:19], v[158:159], v[176:177], v[8:9] op_sel:[0,0,1] op_sel_hi:[1,1,0]
	v_pk_fma_f32 v[110:111], v[158:159], v[176:177], v[8:9] op_sel:[0,0,1] op_sel_hi:[1,1,0] neg_lo:[0,0,1] neg_hi:[0,0,1]
	v_pk_mul_f32 v[8:9], v[16:17], v[174:175]
	v_pk_mul_f32 v[16:17], v[206:207], v[104:105]
	v_pk_fma_f32 v[176:177], v[158:159], v[174:175], v[8:9] op_sel:[0,0,1] op_sel_hi:[1,1,0]
	v_pk_fma_f32 v[158:159], v[158:159], v[174:175], v[8:9] op_sel:[0,0,1] op_sel_hi:[1,1,0] neg_lo:[0,0,1] neg_hi:[0,0,1]
	v_pk_fma_f32 v[174:175], v[2:3], v[104:105], v[16:17] op_sel:[0,0,1] op_sel_hi:[1,1,0]
	v_pk_fma_f32 v[2:3], v[2:3], v[104:105], v[16:17] op_sel:[0,0,1] op_sel_hi:[1,1,0] neg_lo:[0,0,1] neg_hi:[0,0,1]
	v_pk_mul_f32 v[16:17], v[4:5], v[102:103] op_sel:[1,0]
	v_mov_b32_e32 v175, v3
	v_pk_fma_f32 v[2:3], v[4:5], v[102:103], v[16:17] op_sel:[0,0,1] op_sel_hi:[1,1,0]
	v_pk_fma_f32 v[102:103], v[4:5], v[102:103], v[16:17] op_sel:[0,0,1] op_sel_hi:[0,1,0] neg_lo:[0,0,1] neg_hi:[0,0,1]
	v_pk_mul_f32 v[16:17], v[4:5], v[100:101] op_sel:[1,0]
	ds_read2_b64 v[8:11], v148 offset1:52
	v_pk_fma_f32 v[120:121], v[4:5], v[100:101], v[16:17] op_sel:[0,0,1] op_sel_hi:[1,1,0]
	v_pk_fma_f32 v[132:133], v[4:5], v[100:101], v[16:17] op_sel:[0,0,1] op_sel_hi:[0,1,0] neg_lo:[0,0,1] neg_hi:[0,0,1]
	s_waitcnt lgkmcnt(1)
	v_pk_mul_f32 v[4:5], v[6:7], v[164:165] op_sel:[1,0]
	v_mov_b32_e32 v121, v133
	v_pk_mul_f32 v[132:133], v[6:7], v[162:163] op_sel:[1,0]
	v_pk_fma_f32 v[16:17], v[6:7], v[164:165], v[4:5] op_sel:[0,0,1] op_sel_hi:[1,1,0]
	v_pk_fma_f32 v[100:101], v[6:7], v[164:165], v[4:5] op_sel:[0,0,1] op_sel_hi:[0,1,0] neg_lo:[0,0,1] neg_hi:[0,0,1]
	v_pk_fma_f32 v[138:139], v[6:7], v[162:163], v[132:133] op_sel:[0,0,1] op_sel_hi:[1,1,0]
	v_pk_fma_f32 v[6:7], v[6:7], v[162:163], v[132:133] op_sel:[0,0,1] op_sel_hi:[0,1,0] neg_lo:[0,0,1] neg_hi:[0,0,1]
	v_pk_mul_f32 v[104:105], v[0:1], v[168:169] op_sel:[1,0]
	v_mov_b32_e32 v139, v7
	v_pk_mul_f32 v[6:7], v[0:1], v[166:167] op_sel:[1,0]
	v_pk_fma_f32 v[4:5], v[0:1], v[168:169], v[104:105] op_sel:[0,0,1] op_sel_hi:[1,1,0]
	v_pk_fma_f32 v[104:105], v[0:1], v[168:169], v[104:105] op_sel:[0,0,1] op_sel_hi:[0,1,0] neg_lo:[0,0,1] neg_hi:[0,0,1]
	v_pk_fma_f32 v[142:143], v[0:1], v[166:167], v[6:7] op_sel:[0,0,1] op_sel_hi:[1,1,0]
	v_pk_fma_f32 v[0:1], v[0:1], v[166:167], v[6:7] op_sel:[0,0,1] op_sel_hi:[0,1,0] neg_lo:[0,0,1] neg_hi:[0,0,1]
	v_mov_b32_e32 v143, v1
	s_waitcnt lgkmcnt(0)
	v_pk_add_f32 v[0:1], v[8:9], v[120:121]
	v_mov_b32_e32 v181, v179
	v_pk_add_f32 v[0:1], v[0:1], v[138:139]
	v_mov_b32_e32 v177, v159
	v_pk_add_f32 v[0:1], v[0:1], v[142:143]
	v_pk_add_f32 v[204:205], v[120:121], v[180:181] neg_lo:[0,1] neg_hi:[0,1]
	v_pk_add_f32 v[0:1], v[0:1], v[174:175]
	v_pk_add_f32 v[202:203], v[120:121], v[180:181]
	v_pk_add_f32 v[0:1], v[0:1], v[134:135]
	v_pk_mul_f32 v[6:7], v[204:205], s[30:31] op_sel_hi:[1,0]
	v_pk_add_f32 v[0:1], v[0:1], v[128:129]
	v_pk_add_f32 v[230:231], v[138:139], v[176:177] neg_lo:[0,1] neg_hi:[0,1]
	v_pk_add_f32 v[0:1], v[0:1], v[140:141]
	v_pk_add_f32 v[224:225], v[138:139], v[176:177]
	v_pk_add_f32 v[0:1], v[0:1], v[124:125]
	v_pk_mul_f32 v[132:133], v[230:231], s[10:11] op_sel_hi:[1,0]
	;; [unrolled: 6-line block ×3, first 2 shown]
	v_pk_add_f32 v[150:151], v[0:1], v[180:181]
	v_pk_fma_f32 v[0:1], v[202:203], s[0:1], v[6:7] op_sel:[0,0,1] op_sel_hi:[1,0,0]
	v_pk_fma_f32 v[6:7], v[202:203], s[0:1], v[6:7] op_sel:[0,0,1] op_sel_hi:[1,0,0] neg_lo:[0,0,1] neg_hi:[0,0,1]
	v_mov_b32_e32 v120, v0
	v_mov_b32_e32 v121, v7
	v_pk_add_f32 v[158:159], v[8:9], v[120:121]
	v_pk_fma_f32 v[120:121], v[224:225], s[2:3], v[132:133] op_sel:[0,0,1] op_sel_hi:[1,0,0]
	v_pk_fma_f32 v[132:133], v[224:225], s[2:3], v[132:133] op_sel:[0,0,1] op_sel_hi:[1,0,0] neg_lo:[0,0,1] neg_hi:[0,0,1]
	v_mov_b32_e32 v138, v120
	v_mov_b32_e32 v139, v133
	v_pk_add_f32 v[158:159], v[138:139], v[158:159]
	v_pk_fma_f32 v[138:139], v[232:233], s[8:9], v[142:143] op_sel:[0,0,1] op_sel_hi:[1,0,0]
	v_pk_fma_f32 v[142:143], v[232:233], s[8:9], v[142:143] op_sel:[0,0,1] op_sel_hi:[1,0,0] neg_lo:[0,0,1] neg_hi:[0,0,1]
	v_pk_add_f32 v[248:249], v[174:175], v[170:171] neg_lo:[0,1] neg_hi:[0,1]
	v_mov_b32_e32 v146, v138
	v_mov_b32_e32 v147, v143
	v_pk_add_f32 v[246:247], v[174:175], v[170:171]
	v_pk_mul_f32 v[162:163], v[248:249], s[24:25] op_sel_hi:[1,0]
	v_pk_add_f32 v[146:147], v[146:147], v[158:159]
	v_pk_fma_f32 v[158:159], v[246:247], s[16:17], v[162:163] op_sel:[0,0,1] op_sel_hi:[1,0,0]
	v_pk_fma_f32 v[162:163], v[246:247], s[16:17], v[162:163] op_sel:[0,0,1] op_sel_hi:[1,0,0] neg_lo:[0,0,1] neg_hi:[0,0,1]
	v_pk_add_f32 v[238:239], v[134:135], v[124:125] neg_lo:[0,1] neg_hi:[0,1]
	v_mov_b32_e32 v164, v158
	v_mov_b32_e32 v165, v163
	v_pk_add_f32 v[250:251], v[134:135], v[124:125]
	v_pk_mul_f32 v[124:125], v[238:239], s[22:23] op_sel_hi:[1,0]
	v_pk_add_f32 v[228:229], v[128:129], v[140:141] neg_lo:[0,1] neg_hi:[0,1]
	v_pk_add_f32 v[146:147], v[164:165], v[146:147]
	v_pk_fma_f32 v[164:165], v[250:251], s[18:19], v[124:125] op_sel:[0,0,1] op_sel_hi:[1,0,0]
	v_pk_fma_f32 v[166:167], v[250:251], s[18:19], v[124:125] op_sel:[0,0,1] op_sel_hi:[1,0,0] neg_lo:[0,0,1] neg_hi:[0,0,1]
	v_pk_add_f32 v[222:223], v[128:129], v[140:141]
	v_pk_mul_f32 v[128:129], v[228:229], s[26:27] op_sel_hi:[1,0]
	v_mov_b32_e32 v124, v164
	v_mov_b32_e32 v125, v167
	v_pk_fma_f32 v[168:169], v[222:223], s[14:15], v[128:129] op_sel:[0,0,1] op_sel_hi:[1,0,0]
	v_pk_fma_f32 v[206:207], v[222:223], s[14:15], v[128:129] op_sel:[0,0,1] op_sel_hi:[1,0,0] neg_lo:[0,0,1] neg_hi:[0,0,1]
	v_pk_add_f32 v[124:125], v[124:125], v[146:147]
	v_mov_b32_e32 v128, v168
	v_mov_b32_e32 v129, v207
	v_pk_add_f32 v[124:125], v[128:129], v[124:125]
	s_waitcnt lgkmcnt(0)
	; wave barrier
	ds_write2_b64 v208, v[150:151], v[124:125] offset1:2
	v_pk_mul_f32 v[124:125], v[204:205], s[10:11] op_sel_hi:[1,0]
	v_pk_mul_f32 v[128:129], v[230:231], s[24:25] op_sel_hi:[1,0]
	v_pk_fma_f32 v[176:177], v[202:203], s[2:3], v[124:125] op_sel:[0,0,1] op_sel_hi:[1,0,0]
	v_pk_fma_f32 v[174:175], v[202:203], s[2:3], v[124:125] op_sel:[0,0,1] op_sel_hi:[1,0,0] neg_lo:[0,0,1] neg_hi:[0,0,1]
	v_mov_b32_e32 v124, v176
	v_mov_b32_e32 v125, v175
	v_pk_fma_f32 v[180:181], v[224:225], s[16:17], v[128:129] op_sel:[0,0,1] op_sel_hi:[1,0,0]
	v_pk_fma_f32 v[178:179], v[224:225], s[16:17], v[128:129] op_sel:[0,0,1] op_sel_hi:[1,0,0] neg_lo:[0,0,1] neg_hi:[0,0,1]
	v_pk_add_f32 v[124:125], v[8:9], v[124:125]
	v_mov_b32_e32 v128, v180
	v_mov_b32_e32 v129, v179
	v_pk_add_f32 v[124:125], v[128:129], v[124:125]
	v_pk_mul_f32 v[128:129], v[234:235], s[26:27] op_sel_hi:[1,0]
	v_pk_mul_f32 v[140:141], v[230:231], s[26:27] op_sel_hi:[1,0]
	v_pk_fma_f32 v[212:213], v[232:233], s[14:15], v[128:129] op_sel:[0,0,1] op_sel_hi:[1,0,0]
	v_pk_fma_f32 v[214:215], v[232:233], s[14:15], v[128:129] op_sel:[0,0,1] op_sel_hi:[1,0,0] neg_lo:[0,0,1] neg_hi:[0,0,1]
	v_mov_b32_e32 v128, v212
	v_mov_b32_e32 v129, v215
	v_pk_add_f32 v[124:125], v[128:129], v[124:125]
	v_pk_mul_f32 v[128:129], v[248:249], s[36:37] op_sel_hi:[1,0]
	v_pk_fma_f32 v[188:189], v[224:225], s[14:15], v[140:141] op_sel:[0,0,1] op_sel_hi:[1,0,0]
	v_pk_fma_f32 v[216:217], v[246:247], s[18:19], v[128:129] op_sel:[0,0,1] op_sel_hi:[1,0,0]
	v_pk_fma_f32 v[218:219], v[246:247], s[18:19], v[128:129] op_sel:[0,0,1] op_sel_hi:[1,0,0] neg_lo:[0,0,1] neg_hi:[0,0,1]
	v_mov_b32_e32 v128, v216
	v_mov_b32_e32 v129, v219
	v_pk_add_f32 v[124:125], v[128:129], v[124:125]
	v_pk_mul_f32 v[128:129], v[238:239], s[28:29] op_sel_hi:[1,0]
	v_pk_fma_f32 v[140:141], v[224:225], s[14:15], v[140:141] op_sel:[0,0,1] op_sel_hi:[1,0,0] neg_lo:[0,0,1] neg_hi:[0,0,1]
	v_pk_fma_f32 v[182:183], v[250:251], s[8:9], v[128:129] op_sel:[0,0,1] op_sel_hi:[1,0,0]
	v_pk_fma_f32 v[220:221], v[250:251], s[8:9], v[128:129] op_sel:[0,0,1] op_sel_hi:[1,0,0] neg_lo:[0,0,1] neg_hi:[0,0,1]
	v_mov_b32_e32 v128, v182
	v_mov_b32_e32 v129, v221
	v_pk_add_f32 v[124:125], v[128:129], v[124:125]
	v_pk_mul_f32 v[128:129], v[228:229], s[34:35] op_sel_hi:[1,0]
	v_mov_b32_e32 v146, v188
	v_pk_fma_f32 v[186:187], v[222:223], s[0:1], v[128:129] op_sel:[0,0,1] op_sel_hi:[1,0,0]
	v_pk_fma_f32 v[184:185], v[222:223], s[0:1], v[128:129] op_sel:[0,0,1] op_sel_hi:[1,0,0] neg_lo:[0,0,1] neg_hi:[0,0,1]
	v_mov_b32_e32 v128, v186
	v_mov_b32_e32 v129, v185
	v_pk_add_f32 v[150:151], v[128:129], v[124:125]
	v_pk_mul_f32 v[124:125], v[204:205], s[20:21] op_sel_hi:[1,0]
	v_mov_b32_e32 v147, v141
	v_pk_fma_f32 v[134:135], v[202:203], s[8:9], v[124:125] op_sel:[0,0,1] op_sel_hi:[1,0,0]
	v_pk_fma_f32 v[128:129], v[202:203], s[8:9], v[124:125] op_sel:[0,0,1] op_sel_hi:[1,0,0] neg_lo:[0,0,1] neg_hi:[0,0,1]
	v_mov_b32_e32 v124, v134
	v_mov_b32_e32 v125, v129
	v_pk_add_f32 v[124:125], v[8:9], v[124:125]
	v_pk_mul_f32 v[170:171], v[234:235], s[42:43] op_sel_hi:[1,0]
	v_pk_add_f32 v[124:125], v[146:147], v[124:125]
	v_pk_fma_f32 v[146:147], v[232:233], s[16:17], v[170:171] op_sel:[0,0,1] op_sel_hi:[1,0,0]
	v_pk_fma_f32 v[190:191], v[232:233], s[16:17], v[170:171] op_sel:[0,0,1] op_sel_hi:[1,0,0] neg_lo:[0,0,1] neg_hi:[0,0,1]
	v_mov_b32_e32 v170, v146
	v_mov_b32_e32 v171, v191
	v_pk_add_f32 v[124:125], v[170:171], v[124:125]
	v_pk_mul_f32 v[170:171], v[248:249], s[34:35] op_sel_hi:[1,0]
	v_pk_mul_f32 v[196:197], v[238:239], s[10:11] op_sel_hi:[1,0]
	v_pk_fma_f32 v[192:193], v[246:247], s[0:1], v[170:171] op_sel:[0,0,1] op_sel_hi:[1,0,0]
	v_pk_fma_f32 v[194:195], v[246:247], s[0:1], v[170:171] op_sel:[0,0,1] op_sel_hi:[1,0,0] neg_lo:[0,0,1] neg_hi:[0,0,1]
	v_mov_b32_e32 v170, v192
	v_mov_b32_e32 v171, v195
	v_pk_add_f32 v[124:125], v[170:171], v[124:125]
	v_pk_fma_f32 v[170:171], v[250:251], s[2:3], v[196:197] op_sel:[0,0,1] op_sel_hi:[1,0,0]
	v_pk_fma_f32 v[196:197], v[250:251], s[2:3], v[196:197] op_sel:[0,0,1] op_sel_hi:[1,0,0] neg_lo:[0,0,1] neg_hi:[0,0,1]
	v_mov_b32_e32 v198, v170
	v_mov_b32_e32 v199, v197
	v_pk_add_f32 v[200:201], v[198:199], v[124:125]
	v_pk_mul_f32 v[198:199], v[228:229], s[22:23] op_sel_hi:[1,0]
	v_pk_mul_f32 v[152:153], v[230:231], s[36:37] op_sel_hi:[1,0]
	v_pk_fma_f32 v[226:227], v[222:223], s[18:19], v[198:199] op_sel:[0,0,1] op_sel_hi:[1,0,0]
	v_pk_fma_f32 v[198:199], v[222:223], s[18:19], v[198:199] op_sel:[0,0,1] op_sel_hi:[1,0,0] neg_lo:[0,0,1] neg_hi:[0,0,1]
	v_mov_b32_e32 v124, v226
	v_mov_b32_e32 v125, v199
	v_pk_add_f32 v[124:125], v[124:125], v[200:201]
	ds_write2_b64 v208, v[150:151], v[124:125] offset0:4 offset1:6
	v_pk_mul_f32 v[124:125], v[204:205], s[24:25] op_sel_hi:[1,0]
	v_pk_fma_f32 v[210:211], v[224:225], s[18:19], v[152:153] op_sel:[0,0,1] op_sel_hi:[1,0,0]
	v_pk_fma_f32 v[150:151], v[202:203], s[16:17], v[124:125] op_sel:[0,0,1] op_sel_hi:[1,0,0]
	v_pk_fma_f32 v[124:125], v[202:203], s[16:17], v[124:125] op_sel:[0,0,1] op_sel_hi:[1,0,0] neg_lo:[0,0,1] neg_hi:[0,0,1]
	v_mov_b32_e32 v200, v150
	v_mov_b32_e32 v201, v125
	v_pk_fma_f32 v[152:153], v[224:225], s[18:19], v[152:153] op_sel:[0,0,1] op_sel_hi:[1,0,0] neg_lo:[0,0,1] neg_hi:[0,0,1]
	v_pk_add_f32 v[200:201], v[8:9], v[200:201]
	v_mov_b32_e32 v154, v210
	v_mov_b32_e32 v155, v153
	v_pk_add_f32 v[154:155], v[154:155], v[200:201]
	v_pk_mul_f32 v[200:201], v[234:235], s[34:35] op_sel_hi:[1,0]
	v_pk_mul_f32 v[252:253], v[230:231], s[28:29] op_sel_hi:[1,0]
	v_pk_fma_f32 v[236:237], v[232:233], s[0:1], v[200:201] op_sel:[0,0,1] op_sel_hi:[1,0,0]
	v_pk_fma_f32 v[200:201], v[232:233], s[0:1], v[200:201] op_sel:[0,0,1] op_sel_hi:[1,0,0] neg_lo:[0,0,1] neg_hi:[0,0,1]
	v_mov_b32_e32 v208, v236
	v_mov_b32_e32 v209, v201
	v_pk_add_f32 v[154:155], v[208:209], v[154:155]
	v_pk_mul_f32 v[208:209], v[248:249], s[20:21] op_sel_hi:[1,0]
	v_pk_fma_f32 v[172:173], v[224:225], s[8:9], v[252:253] op_sel:[0,0,1] op_sel_hi:[1,0,0]
	v_pk_fma_f32 v[136:137], v[246:247], s[8:9], v[208:209] op_sel:[0,0,1] op_sel_hi:[1,0,0]
	v_pk_fma_f32 v[208:209], v[246:247], s[8:9], v[208:209] op_sel:[0,0,1] op_sel_hi:[1,0,0] neg_lo:[0,0,1] neg_hi:[0,0,1]
	v_mov_b32_e32 v156, v136
	v_mov_b32_e32 v157, v209
	v_pk_add_f32 v[154:155], v[156:157], v[154:155]
	v_pk_mul_f32 v[156:157], v[238:239], s[40:41] op_sel_hi:[1,0]
	v_pk_fma_f32 v[252:253], v[224:225], s[8:9], v[252:253] op_sel:[0,0,1] op_sel_hi:[1,0,0] neg_lo:[0,0,1] neg_hi:[0,0,1]
	v_pk_fma_f32 v[242:243], v[250:251], s[14:15], v[156:157] op_sel:[0,0,1] op_sel_hi:[1,0,0]
	v_pk_fma_f32 v[156:157], v[250:251], s[14:15], v[156:157] op_sel:[0,0,1] op_sel_hi:[1,0,0] neg_lo:[0,0,1] neg_hi:[0,0,1]
	v_mov_b32_e32 v240, v242
	v_mov_b32_e32 v241, v157
	v_pk_add_f32 v[154:155], v[240:241], v[154:155]
	v_pk_mul_f32 v[240:241], v[228:229], s[38:39] op_sel_hi:[1,0]
	v_mov_b32_e32 v254, v172
	v_pk_fma_f32 v[144:145], v[222:223], s[2:3], v[240:241] op_sel:[0,0,1] op_sel_hi:[1,0,0]
	v_pk_fma_f32 v[240:241], v[222:223], s[2:3], v[240:241] op_sel:[0,0,1] op_sel_hi:[1,0,0] neg_lo:[0,0,1] neg_hi:[0,0,1]
	v_mov_b32_e32 v244, v144
	v_mov_b32_e32 v245, v241
	v_pk_add_f32 v[154:155], v[244:245], v[154:155]
	v_pk_mul_f32 v[244:245], v[204:205], s[22:23] op_sel_hi:[1,0]
	v_mov_b32_e32 v255, v253
	v_pk_fma_f32 v[48:49], v[202:203], s[18:19], v[244:245] op_sel:[0,0,1] op_sel_hi:[1,0,0]
	v_pk_fma_f32 v[50:51], v[202:203], s[18:19], v[244:245] op_sel:[0,0,1] op_sel_hi:[1,0,0] neg_lo:[0,0,1] neg_hi:[0,0,1]
	v_mov_b32_e32 v244, v48
	v_mov_b32_e32 v245, v51
	v_pk_add_f32 v[244:245], v[8:9], v[244:245]
	v_mov_b32_e32 v51, v49
	v_pk_add_f32 v[244:245], v[254:255], v[244:245]
	v_pk_mul_f32 v[254:255], v[234:235], s[10:11] op_sel_hi:[1,0]
	v_mov_b32_e32 v253, v173
	v_pk_fma_f32 v[32:33], v[232:233], s[2:3], v[254:255] op_sel:[0,0,1] op_sel_hi:[1,0,0]
	v_pk_fma_f32 v[34:35], v[232:233], s[2:3], v[254:255] op_sel:[0,0,1] op_sel_hi:[1,0,0] neg_lo:[0,0,1] neg_hi:[0,0,1]
	v_mov_b32_e32 v254, v32
	v_mov_b32_e32 v255, v35
	v_pk_add_f32 v[244:245], v[254:255], v[244:245]
	v_pk_mul_f32 v[254:255], v[248:249], s[40:41] op_sel_hi:[1,0]
	v_pk_add_f32 v[48:49], v[8:9], v[50:51]
	v_pk_fma_f32 v[36:37], v[246:247], s[14:15], v[254:255] op_sel:[0,0,1] op_sel_hi:[1,0,0]
	v_pk_fma_f32 v[38:39], v[246:247], s[14:15], v[254:255] op_sel:[0,0,1] op_sel_hi:[1,0,0] neg_lo:[0,0,1] neg_hi:[0,0,1]
	v_mov_b32_e32 v254, v36
	v_mov_b32_e32 v255, v39
	v_pk_add_f32 v[244:245], v[254:255], v[244:245]
	v_pk_mul_f32 v[254:255], v[238:239], s[34:35] op_sel_hi:[1,0]
	v_pk_add_f32 v[48:49], v[252:253], v[48:49]
	v_pk_fma_f32 v[44:45], v[250:251], s[0:1], v[254:255] op_sel:[0,0,1] op_sel_hi:[1,0,0]
	v_pk_fma_f32 v[46:47], v[250:251], s[0:1], v[254:255] op_sel:[0,0,1] op_sel_hi:[1,0,0] neg_lo:[0,0,1] neg_hi:[0,0,1]
	v_mov_b32_e32 v254, v44
	v_mov_b32_e32 v255, v47
	;; [unrolled: 1-line block ×3, first 2 shown]
	v_pk_add_f32 v[244:245], v[254:255], v[244:245]
	v_pk_mul_f32 v[254:255], v[228:229], s[24:25] op_sel_hi:[1,0]
	v_pk_add_f32 v[32:33], v[34:35], v[48:49]
	v_mov_b32_e32 v39, v37
	v_pk_fma_f32 v[24:25], v[222:223], s[16:17], v[254:255] op_sel:[0,0,1] op_sel_hi:[1,0,0]
	v_pk_fma_f32 v[26:27], v[222:223], s[16:17], v[254:255] op_sel:[0,0,1] op_sel_hi:[1,0,0] neg_lo:[0,0,1] neg_hi:[0,0,1]
	v_pk_add_f32 v[32:33], v[38:39], v[32:33]
	v_mov_b32_e32 v47, v45
	v_mov_b32_e32 v255, v27
	v_pk_add_f32 v[32:33], v[46:47], v[32:33]
	v_mov_b32_e32 v27, v25
	v_mov_b32_e32 v125, v151
	v_mov_b32_e32 v254, v24
	v_pk_add_f32 v[24:25], v[26:27], v[32:33]
	v_mov_b32_e32 v153, v211
	v_pk_add_f32 v[26:27], v[8:9], v[124:125]
	v_mov_b32_e32 v201, v237
	;; [unrolled: 2-line block ×6, first 2 shown]
	v_pk_add_f32 v[26:27], v[240:241], v[26:27]
	ds_write2_b64 v57, v[24:25], v[26:27] offset0:16 offset1:18
	v_mov_b32_e32 v17, v101
	v_pk_add_f32 v[24:25], v[10:11], v[2:3]
	v_mov_b32_e32 v5, v105
	v_pk_add_f32 v[24:25], v[24:25], v[16:17]
	;; [unrolled: 2-line block ×9, first 2 shown]
	v_pk_add_f32 v[32:33], v[2:3], v[20:21] neg_lo:[0,1] neg_hi:[0,1]
	v_pk_add_f32 v[24:25], v[24:25], v[116:117]
	v_pk_add_f32 v[26:27], v[2:3], v[20:21]
	;; [unrolled: 1-line block ×3, first 2 shown]
	v_pk_add_f32 v[34:35], v[16:17], v[18:19] neg_lo:[0,1] neg_hi:[0,1]
	v_pk_mul_f32 v[16:17], v[32:33], s[30:31] op_sel_hi:[1,0]
	v_pk_add_f32 v[24:25], v[24:25], v[18:19]
	v_pk_fma_f32 v[2:3], v[26:27], s[0:1], v[16:17] op_sel:[0,0,1] op_sel_hi:[1,0,0]
	v_pk_fma_f32 v[16:17], v[26:27], s[0:1], v[16:17] op_sel:[0,0,1] op_sel_hi:[1,0,0] neg_lo:[0,0,1] neg_hi:[0,0,1]
	v_pk_add_f32 v[24:25], v[24:25], v[20:21]
	v_mov_b32_e32 v18, v2
	v_mov_b32_e32 v19, v17
	v_pk_mul_f32 v[20:21], v[34:35], s[10:11] op_sel_hi:[1,0]
	v_pk_add_f32 v[36:37], v[10:11], v[18:19]
	v_pk_fma_f32 v[18:19], v[110:111], s[2:3], v[20:21] op_sel:[0,0,1] op_sel_hi:[1,0,0]
	v_pk_fma_f32 v[20:21], v[110:111], s[2:3], v[20:21] op_sel:[0,0,1] op_sel_hi:[1,0,0] neg_lo:[0,0,1] neg_hi:[0,0,1]
	v_mov_b32_e32 v38, v18
	v_mov_b32_e32 v39, v21
	v_pk_add_f32 v[44:45], v[4:5], v[116:117] neg_lo:[0,1] neg_hi:[0,1]
	v_pk_add_f32 v[36:37], v[38:39], v[36:37]
	v_pk_add_f32 v[38:39], v[4:5], v[116:117]
	v_pk_mul_f32 v[46:47], v[44:45], s[20:21] op_sel_hi:[1,0]
	v_pk_add_f32 v[244:245], v[254:255], v[244:245]
	v_pk_fma_f32 v[4:5], v[38:39], s[8:9], v[46:47] op_sel:[0,0,1] op_sel_hi:[1,0,0]
	v_pk_fma_f32 v[100:101], v[38:39], s[8:9], v[46:47] op_sel:[0,0,1] op_sel_hi:[1,0,0] neg_lo:[0,0,1] neg_hi:[0,0,1]
	ds_write2_b64 v57, v[154:155], v[244:245] offset0:8 offset1:10
	v_pk_mul_f32 v[154:155], v[204:205], s[26:27] op_sel_hi:[1,0]
	v_mov_b32_e32 v46, v4
	v_mov_b32_e32 v47, v101
	v_pk_add_f32 v[48:49], v[108:109], v[22:23] neg_lo:[0,1] neg_hi:[0,1]
	v_pk_fma_f32 v[204:205], v[202:203], s[14:15], v[154:155] op_sel:[0,0,1] op_sel_hi:[1,0,0]
	v_pk_fma_f32 v[154:155], v[202:203], s[14:15], v[154:155] op_sel:[0,0,1] op_sel_hi:[1,0,0] neg_lo:[0,0,1] neg_hi:[0,0,1]
	v_pk_mul_f32 v[202:203], v[230:231], s[34:35] op_sel_hi:[1,0]
	v_pk_add_f32 v[36:37], v[46:47], v[36:37]
	v_pk_add_f32 v[46:47], v[108:109], v[22:23]
	v_pk_mul_f32 v[50:51], v[48:49], s[24:25] op_sel_hi:[1,0]
	v_pk_fma_f32 v[230:231], v[224:225], s[0:1], v[202:203] op_sel:[0,0,1] op_sel_hi:[1,0,0]
	v_pk_fma_f32 v[202:203], v[224:225], s[0:1], v[202:203] op_sel:[0,0,1] op_sel_hi:[1,0,0] neg_lo:[0,0,1] neg_hi:[0,0,1]
	v_mov_b32_e32 v224, v204
	v_mov_b32_e32 v225, v155
	v_pk_fma_f32 v[22:23], v[46:47], s[16:17], v[50:51] op_sel:[0,0,1] op_sel_hi:[1,0,0]
	v_pk_fma_f32 v[102:103], v[46:47], s[16:17], v[50:51] op_sel:[0,0,1] op_sel_hi:[1,0,0] neg_lo:[0,0,1] neg_hi:[0,0,1]
	v_pk_add_f32 v[224:225], v[8:9], v[224:225]
	v_mov_b32_e32 v244, v230
	v_mov_b32_e32 v245, v203
	v_pk_mul_f32 v[234:235], v[234:235], s[22:23] op_sel_hi:[1,0]
	v_mov_b32_e32 v50, v22
	v_mov_b32_e32 v51, v103
	v_pk_add_f32 v[112:113], v[14:15], v[114:115] neg_lo:[0,1] neg_hi:[0,1]
	v_pk_add_f32 v[224:225], v[244:245], v[224:225]
	v_pk_fma_f32 v[244:245], v[232:233], s[18:19], v[234:235] op_sel:[0,0,1] op_sel_hi:[1,0,0]
	v_pk_fma_f32 v[232:233], v[232:233], s[18:19], v[234:235] op_sel:[0,0,1] op_sel_hi:[1,0,0] neg_lo:[0,0,1] neg_hi:[0,0,1]
	v_pk_add_f32 v[36:37], v[50:51], v[36:37]
	v_pk_add_f32 v[50:51], v[14:15], v[114:115]
	v_pk_mul_f32 v[104:105], v[112:113], s[22:23] op_sel_hi:[1,0]
	v_pk_add_f32 v[116:117], v[106:107], v[12:13] neg_lo:[0,1] neg_hi:[0,1]
	v_mov_b32_e32 v234, v244
	v_mov_b32_e32 v235, v233
	v_pk_fma_f32 v[14:15], v[50:51], s[18:19], v[104:105] op_sel:[0,0,1] op_sel_hi:[1,0,0]
	v_pk_fma_f32 v[104:105], v[50:51], s[18:19], v[104:105] op_sel:[0,0,1] op_sel_hi:[1,0,0] neg_lo:[0,0,1] neg_hi:[0,0,1]
	v_pk_add_f32 v[114:115], v[106:107], v[12:13]
	v_pk_mul_f32 v[106:107], v[116:117], s[26:27] op_sel_hi:[1,0]
	v_pk_add_f32 v[224:225], v[234:235], v[224:225]
	v_pk_mul_f32 v[234:235], v[248:249], s[38:39] op_sel_hi:[1,0]
	v_mov_b32_e32 v108, v14
	v_mov_b32_e32 v109, v105
	v_pk_fma_f32 v[12:13], v[114:115], s[14:15], v[106:107] op_sel:[0,0,1] op_sel_hi:[1,0,0]
	v_pk_fma_f32 v[106:107], v[114:115], s[14:15], v[106:107] op_sel:[0,0,1] op_sel_hi:[1,0,0] neg_lo:[0,0,1] neg_hi:[0,0,1]
	v_mov_b32_e32 v7, v1
	v_pk_fma_f32 v[248:249], v[246:247], s[2:3], v[234:235] op_sel:[0,0,1] op_sel_hi:[1,0,0]
	v_pk_fma_f32 v[234:235], v[246:247], s[2:3], v[234:235] op_sel:[0,0,1] op_sel_hi:[1,0,0] neg_lo:[0,0,1] neg_hi:[0,0,1]
	v_mov_b32_e32 v155, v205
	v_pk_add_f32 v[36:37], v[108:109], v[36:37]
	v_mov_b32_e32 v108, v12
	v_mov_b32_e32 v109, v107
	;; [unrolled: 1-line block ×4, first 2 shown]
	v_pk_add_f32 v[0:1], v[8:9], v[6:7]
	v_mov_b32_e32 v133, v121
	v_mov_b32_e32 v246, v248
	;; [unrolled: 1-line block ×3, first 2 shown]
	v_pk_mul_f32 v[238:239], v[238:239], s[24:25] op_sel_hi:[1,0]
	v_mov_b32_e32 v203, v231
	v_pk_add_f32 v[154:155], v[8:9], v[154:155]
	v_pk_add_f32 v[36:37], v[108:109], v[36:37]
	v_mov_b32_e32 v141, v189
	v_pk_add_f32 v[108:109], v[8:9], v[128:129]
	v_mov_b32_e32 v179, v181
	v_pk_add_f32 v[118:119], v[8:9], v[174:175]
	v_pk_add_f32 v[0:1], v[132:133], v[0:1]
	v_mov_b32_e32 v143, v139
	v_pk_add_f32 v[224:225], v[246:247], v[224:225]
	v_pk_fma_f32 v[246:247], v[250:251], s[16:17], v[238:239] op_sel:[0,0,1] op_sel_hi:[1,0,0]
	v_pk_fma_f32 v[238:239], v[250:251], s[16:17], v[238:239] op_sel:[0,0,1] op_sel_hi:[1,0,0] neg_lo:[0,0,1] neg_hi:[0,0,1]
	v_pk_add_f32 v[154:155], v[202:203], v[154:155]
	v_mov_b32_e32 v233, v245
	v_pk_add_f32 v[108:109], v[140:141], v[108:109]
	v_mov_b32_e32 v191, v147
	;; [unrolled: 2-line block ×4, first 2 shown]
	v_mov_b32_e32 v250, v246
	v_mov_b32_e32 v251, v239
	v_pk_mul_f32 v[228:229], v[228:229], s[28:29] op_sel_hi:[1,0]
	v_pk_add_f32 v[154:155], v[232:233], v[154:155]
	v_mov_b32_e32 v235, v249
	v_pk_add_f32 v[108:109], v[190:191], v[108:109]
	v_mov_b32_e32 v195, v193
	;; [unrolled: 2-line block ×4, first 2 shown]
	v_pk_add_f32 v[224:225], v[250:251], v[224:225]
	v_pk_fma_f32 v[250:251], v[222:223], s[8:9], v[228:229] op_sel:[0,0,1] op_sel_hi:[1,0,0]
	v_pk_fma_f32 v[222:223], v[222:223], s[8:9], v[228:229] op_sel:[0,0,1] op_sel_hi:[1,0,0] neg_lo:[0,0,1] neg_hi:[0,0,1]
	v_pk_add_f32 v[154:155], v[234:235], v[154:155]
	v_mov_b32_e32 v239, v247
	v_pk_add_f32 v[108:109], v[194:195], v[108:109]
	v_mov_b32_e32 v197, v171
	;; [unrolled: 2-line block ×4, first 2 shown]
	v_mov_b32_e32 v228, v250
	v_mov_b32_e32 v229, v223
	v_pk_add_f32 v[154:155], v[238:239], v[154:155]
	v_mov_b32_e32 v223, v251
	v_pk_add_f32 v[108:109], v[196:197], v[108:109]
	;; [unrolled: 2-line block ×4, first 2 shown]
	v_pk_mul_f32 v[6:7], v[32:33], s[10:11] op_sel_hi:[1,0]
	v_pk_add_f32 v[224:225], v[228:229], v[224:225]
	v_pk_add_f32 v[154:155], v[222:223], v[154:155]
	;; [unrolled: 1-line block ×4, first 2 shown]
	ds_write_b64 v57, v[0:1] offset:192
	v_accvgpr_read_b32 v2, a7
	v_pk_fma_f32 v[0:1], v[26:27], s[2:3], v[6:7] op_sel:[0,0,1] op_sel_hi:[1,0,0]
	v_pk_fma_f32 v[6:7], v[26:27], s[2:3], v[6:7] op_sel:[0,0,1] op_sel_hi:[1,0,0] neg_lo:[0,0,1] neg_hi:[0,0,1]
	ds_write2_b64 v57, v[224:225], v[154:155] offset0:12 offset1:14
	ds_write2_b64 v57, v[108:109], v[118:119] offset0:20 offset1:22
	ds_write2_b64 v2, v[24:25], v[36:37] offset1:2
	v_mov_b32_e32 v8, v0
	v_mov_b32_e32 v9, v7
	v_pk_mul_f32 v[36:37], v[34:35], s[24:25] op_sel_hi:[1,0]
	v_pk_add_f32 v[24:25], v[10:11], v[8:9]
	v_pk_fma_f32 v[8:9], v[110:111], s[16:17], v[36:37] op_sel:[0,0,1] op_sel_hi:[1,0,0]
	v_pk_fma_f32 v[108:109], v[110:111], s[16:17], v[36:37] op_sel:[0,0,1] op_sel_hi:[1,0,0] neg_lo:[0,0,1] neg_hi:[0,0,1]
	v_mov_b32_e32 v36, v8
	v_mov_b32_e32 v37, v109
	v_pk_add_f32 v[24:25], v[36:37], v[24:25]
	v_pk_mul_f32 v[36:37], v[44:45], s[26:27] op_sel_hi:[1,0]
	v_pk_mul_f32 v[138:139], v[34:35], s[26:27] op_sel_hi:[1,0]
	v_pk_fma_f32 v[118:119], v[38:39], s[14:15], v[36:37] op_sel:[0,0,1] op_sel_hi:[1,0,0]
	v_pk_fma_f32 v[36:37], v[38:39], s[14:15], v[36:37] op_sel:[0,0,1] op_sel_hi:[1,0,0] neg_lo:[0,0,1] neg_hi:[0,0,1]
	v_mov_b32_e32 v120, v118
	v_mov_b32_e32 v121, v37
	v_pk_add_f32 v[24:25], v[120:121], v[24:25]
	v_pk_mul_f32 v[120:121], v[48:49], s[36:37] op_sel_hi:[1,0]
	v_pk_fma_f32 v[140:141], v[110:111], s[14:15], v[138:139] op_sel:[0,0,1] op_sel_hi:[1,0,0]
	v_pk_fma_f32 v[122:123], v[46:47], s[18:19], v[120:121] op_sel:[0,0,1] op_sel_hi:[1,0,0]
	v_pk_fma_f32 v[120:121], v[46:47], s[18:19], v[120:121] op_sel:[0,0,1] op_sel_hi:[1,0,0] neg_lo:[0,0,1] neg_hi:[0,0,1]
	v_mov_b32_e32 v124, v122
	v_mov_b32_e32 v125, v121
	v_pk_add_f32 v[24:25], v[124:125], v[24:25]
	v_pk_mul_f32 v[124:125], v[112:113], s[28:29] op_sel_hi:[1,0]
	v_pk_fma_f32 v[138:139], v[110:111], s[14:15], v[138:139] op_sel:[0,0,1] op_sel_hi:[1,0,0] neg_lo:[0,0,1] neg_hi:[0,0,1]
	v_pk_fma_f32 v[126:127], v[50:51], s[8:9], v[124:125] op_sel:[0,0,1] op_sel_hi:[1,0,0]
	v_pk_fma_f32 v[124:125], v[50:51], s[8:9], v[124:125] op_sel:[0,0,1] op_sel_hi:[1,0,0] neg_lo:[0,0,1] neg_hi:[0,0,1]
	v_mov_b32_e32 v128, v126
	v_mov_b32_e32 v129, v125
	v_pk_add_f32 v[24:25], v[128:129], v[24:25]
	v_pk_mul_f32 v[128:129], v[116:117], s[34:35] op_sel_hi:[1,0]
	v_mov_b32_e32 v142, v140
	v_pk_fma_f32 v[130:131], v[114:115], s[0:1], v[128:129] op_sel:[0,0,1] op_sel_hi:[1,0,0]
	v_pk_fma_f32 v[128:129], v[114:115], s[0:1], v[128:129] op_sel:[0,0,1] op_sel_hi:[1,0,0] neg_lo:[0,0,1] neg_hi:[0,0,1]
	v_mov_b32_e32 v132, v130
	v_mov_b32_e32 v133, v129
	v_pk_add_f32 v[24:25], v[132:133], v[24:25]
	v_pk_mul_f32 v[132:133], v[32:33], s[20:21] op_sel_hi:[1,0]
	v_mov_b32_e32 v143, v139
	v_pk_fma_f32 v[134:135], v[26:27], s[8:9], v[132:133] op_sel:[0,0,1] op_sel_hi:[1,0,0]
	v_pk_fma_f32 v[132:133], v[26:27], s[8:9], v[132:133] op_sel:[0,0,1] op_sel_hi:[1,0,0] neg_lo:[0,0,1] neg_hi:[0,0,1]
	v_mov_b32_e32 v136, v134
	v_mov_b32_e32 v137, v133
	v_pk_add_f32 v[136:137], v[10:11], v[136:137]
	v_pk_mul_f32 v[162:163], v[34:35], s[36:37] op_sel_hi:[1,0]
	v_pk_add_f32 v[136:137], v[142:143], v[136:137]
	v_pk_mul_f32 v[142:143], v[44:45], s[42:43] op_sel_hi:[1,0]
	v_pk_fma_f32 v[164:165], v[110:111], s[18:19], v[162:163] op_sel:[0,0,1] op_sel_hi:[1,0,0]
	v_pk_fma_f32 v[144:145], v[38:39], s[16:17], v[142:143] op_sel:[0,0,1] op_sel_hi:[1,0,0]
	v_pk_fma_f32 v[142:143], v[38:39], s[16:17], v[142:143] op_sel:[0,0,1] op_sel_hi:[1,0,0] neg_lo:[0,0,1] neg_hi:[0,0,1]
	v_mov_b32_e32 v146, v144
	v_mov_b32_e32 v147, v143
	v_pk_add_f32 v[136:137], v[146:147], v[136:137]
	v_pk_mul_f32 v[146:147], v[48:49], s[34:35] op_sel_hi:[1,0]
	v_pk_fma_f32 v[162:163], v[110:111], s[18:19], v[162:163] op_sel:[0,0,1] op_sel_hi:[1,0,0] neg_lo:[0,0,1] neg_hi:[0,0,1]
	v_pk_fma_f32 v[150:151], v[46:47], s[0:1], v[146:147] op_sel:[0,0,1] op_sel_hi:[1,0,0]
	v_pk_fma_f32 v[146:147], v[46:47], s[0:1], v[146:147] op_sel:[0,0,1] op_sel_hi:[1,0,0] neg_lo:[0,0,1] neg_hi:[0,0,1]
	v_mov_b32_e32 v152, v150
	v_mov_b32_e32 v153, v147
	v_pk_add_f32 v[136:137], v[152:153], v[136:137]
	v_pk_mul_f32 v[152:153], v[112:113], s[10:11] op_sel_hi:[1,0]
	v_mov_b32_e32 v166, v164
	v_pk_fma_f32 v[154:155], v[50:51], s[2:3], v[152:153] op_sel:[0,0,1] op_sel_hi:[1,0,0]
	v_pk_fma_f32 v[152:153], v[50:51], s[2:3], v[152:153] op_sel:[0,0,1] op_sel_hi:[1,0,0] neg_lo:[0,0,1] neg_hi:[0,0,1]
	v_mov_b32_e32 v156, v154
	v_mov_b32_e32 v157, v153
	v_pk_add_f32 v[136:137], v[156:157], v[136:137]
	v_pk_mul_f32 v[156:157], v[116:117], s[22:23] op_sel_hi:[1,0]
	v_mov_b32_e32 v167, v163
	v_pk_fma_f32 v[158:159], v[114:115], s[18:19], v[156:157] op_sel:[0,0,1] op_sel_hi:[1,0,0]
	v_pk_fma_f32 v[156:157], v[114:115], s[18:19], v[156:157] op_sel:[0,0,1] op_sel_hi:[1,0,0] neg_lo:[0,0,1] neg_hi:[0,0,1]
	v_mov_b32_e32 v160, v158
	v_mov_b32_e32 v161, v157
	v_pk_add_f32 v[136:137], v[160:161], v[136:137]
	ds_write2_b64 v2, v[24:25], v[136:137] offset0:4 offset1:6
	v_pk_mul_f32 v[24:25], v[32:33], s[24:25] op_sel_hi:[1,0]
	v_pk_mul_f32 v[188:189], v[34:35], s[28:29] op_sel_hi:[1,0]
	v_pk_fma_f32 v[136:137], v[26:27], s[16:17], v[24:25] op_sel:[0,0,1] op_sel_hi:[1,0,0]
	v_pk_fma_f32 v[24:25], v[26:27], s[16:17], v[24:25] op_sel:[0,0,1] op_sel_hi:[1,0,0] neg_lo:[0,0,1] neg_hi:[0,0,1]
	v_mov_b32_e32 v160, v136
	v_mov_b32_e32 v161, v25
	v_pk_add_f32 v[160:161], v[10:11], v[160:161]
	v_pk_fma_f32 v[190:191], v[110:111], s[8:9], v[188:189] op_sel:[0,0,1] op_sel_hi:[1,0,0]
	v_pk_add_f32 v[160:161], v[166:167], v[160:161]
	v_pk_mul_f32 v[166:167], v[44:45], s[34:35] op_sel_hi:[1,0]
	v_pk_fma_f32 v[188:189], v[110:111], s[8:9], v[188:189] op_sel:[0,0,1] op_sel_hi:[1,0,0] neg_lo:[0,0,1] neg_hi:[0,0,1]
	v_pk_fma_f32 v[168:169], v[38:39], s[0:1], v[166:167] op_sel:[0,0,1] op_sel_hi:[1,0,0]
	v_pk_fma_f32 v[166:167], v[38:39], s[0:1], v[166:167] op_sel:[0,0,1] op_sel_hi:[1,0,0] neg_lo:[0,0,1] neg_hi:[0,0,1]
	v_mov_b32_e32 v170, v168
	v_mov_b32_e32 v171, v167
	v_pk_add_f32 v[160:161], v[170:171], v[160:161]
	v_pk_mul_f32 v[170:171], v[48:49], s[20:21] op_sel_hi:[1,0]
	v_mov_b32_e32 v192, v190
	v_pk_fma_f32 v[172:173], v[46:47], s[8:9], v[170:171] op_sel:[0,0,1] op_sel_hi:[1,0,0]
	v_pk_fma_f32 v[170:171], v[46:47], s[8:9], v[170:171] op_sel:[0,0,1] op_sel_hi:[1,0,0] neg_lo:[0,0,1] neg_hi:[0,0,1]
	v_mov_b32_e32 v174, v172
	v_mov_b32_e32 v175, v171
	v_pk_add_f32 v[160:161], v[174:175], v[160:161]
	v_pk_mul_f32 v[174:175], v[112:113], s[40:41] op_sel_hi:[1,0]
	v_mov_b32_e32 v193, v189
	;; [unrolled: 7-line block ×3, first 2 shown]
	v_pk_fma_f32 v[180:181], v[114:115], s[2:3], v[178:179] op_sel:[0,0,1] op_sel_hi:[1,0,0]
	v_pk_fma_f32 v[178:179], v[114:115], s[2:3], v[178:179] op_sel:[0,0,1] op_sel_hi:[1,0,0] neg_lo:[0,0,1] neg_hi:[0,0,1]
	v_mov_b32_e32 v182, v180
	v_mov_b32_e32 v183, v179
	v_pk_add_f32 v[160:161], v[182:183], v[160:161]
	v_pk_mul_f32 v[182:183], v[32:33], s[22:23] op_sel_hi:[1,0]
	v_pk_mul_f32 v[32:33], v[32:33], s[26:27] op_sel_hi:[1,0]
	v_pk_fma_f32 v[184:185], v[26:27], s[18:19], v[182:183] op_sel:[0,0,1] op_sel_hi:[1,0,0]
	v_pk_fma_f32 v[182:183], v[26:27], s[18:19], v[182:183] op_sel:[0,0,1] op_sel_hi:[1,0,0] neg_lo:[0,0,1] neg_hi:[0,0,1]
	v_mov_b32_e32 v186, v184
	v_mov_b32_e32 v187, v183
	v_pk_add_f32 v[186:187], v[10:11], v[186:187]
	v_mov_b32_e32 v183, v185
	v_pk_add_f32 v[186:187], v[192:193], v[186:187]
	v_pk_mul_f32 v[192:193], v[44:45], s[10:11] op_sel_hi:[1,0]
	v_pk_mul_f32 v[44:45], v[44:45], s[22:23] op_sel_hi:[1,0]
	v_pk_fma_f32 v[194:195], v[38:39], s[2:3], v[192:193] op_sel:[0,0,1] op_sel_hi:[1,0,0]
	v_pk_fma_f32 v[192:193], v[38:39], s[2:3], v[192:193] op_sel:[0,0,1] op_sel_hi:[1,0,0] neg_lo:[0,0,1] neg_hi:[0,0,1]
	v_mov_b32_e32 v196, v194
	v_mov_b32_e32 v197, v193
	v_pk_add_f32 v[186:187], v[196:197], v[186:187]
	v_pk_mul_f32 v[196:197], v[48:49], s[40:41] op_sel_hi:[1,0]
	v_pk_mul_f32 v[48:49], v[48:49], s[38:39] op_sel_hi:[1,0]
	v_pk_fma_f32 v[198:199], v[46:47], s[14:15], v[196:197] op_sel:[0,0,1] op_sel_hi:[1,0,0]
	v_pk_fma_f32 v[196:197], v[46:47], s[14:15], v[196:197] op_sel:[0,0,1] op_sel_hi:[1,0,0] neg_lo:[0,0,1] neg_hi:[0,0,1]
	v_mov_b32_e32 v200, v198
	v_mov_b32_e32 v201, v197
	v_pk_add_f32 v[186:187], v[200:201], v[186:187]
	v_pk_mul_f32 v[200:201], v[112:113], s[34:35] op_sel_hi:[1,0]
	v_mov_b32_e32 v189, v191
	v_pk_fma_f32 v[202:203], v[50:51], s[0:1], v[200:201] op_sel:[0,0,1] op_sel_hi:[1,0,0]
	v_pk_fma_f32 v[200:201], v[50:51], s[0:1], v[200:201] op_sel:[0,0,1] op_sel_hi:[1,0,0] neg_lo:[0,0,1] neg_hi:[0,0,1]
	v_mov_b32_e32 v204, v202
	v_mov_b32_e32 v205, v201
	v_pk_add_f32 v[186:187], v[204:205], v[186:187]
	v_pk_mul_f32 v[204:205], v[116:117], s[24:25] op_sel_hi:[1,0]
	v_mov_b32_e32 v163, v165
	v_pk_fma_f32 v[206:207], v[114:115], s[16:17], v[204:205] op_sel:[0,0,1] op_sel_hi:[1,0,0]
	v_pk_fma_f32 v[204:205], v[114:115], s[16:17], v[204:205] op_sel:[0,0,1] op_sel_hi:[1,0,0] neg_lo:[0,0,1] neg_hi:[0,0,1]
	v_mov_b32_e32 v208, v206
	v_mov_b32_e32 v209, v205
	v_pk_add_f32 v[186:187], v[208:209], v[186:187]
	ds_write2_b64 v2, v[160:161], v[186:187] offset0:8 offset1:10
	v_pk_fma_f32 v[160:161], v[26:27], s[14:15], v[32:33] op_sel:[0,0,1] op_sel_hi:[1,0,0]
	v_pk_fma_f32 v[26:27], v[26:27], s[14:15], v[32:33] op_sel:[0,0,1] op_sel_hi:[1,0,0] neg_lo:[0,0,1] neg_hi:[0,0,1]
	v_pk_mul_f32 v[32:33], v[34:35], s[34:35] op_sel_hi:[1,0]
	v_pk_add_f32 v[24:25], v[10:11], v[24:25]
	v_pk_fma_f32 v[34:35], v[110:111], s[0:1], v[32:33] op_sel:[0,0,1] op_sel_hi:[1,0,0]
	v_pk_fma_f32 v[32:33], v[110:111], s[0:1], v[32:33] op_sel:[0,0,1] op_sel_hi:[1,0,0] neg_lo:[0,0,1] neg_hi:[0,0,1]
	v_mov_b32_e32 v110, v160
	v_mov_b32_e32 v111, v27
	v_pk_add_f32 v[110:111], v[10:11], v[110:111]
	v_mov_b32_e32 v186, v34
	v_mov_b32_e32 v187, v33
	v_pk_add_f32 v[110:111], v[186:187], v[110:111]
	v_pk_fma_f32 v[186:187], v[38:39], s[18:19], v[44:45] op_sel:[0,0,1] op_sel_hi:[1,0,0]
	v_pk_fma_f32 v[38:39], v[38:39], s[18:19], v[44:45] op_sel:[0,0,1] op_sel_hi:[1,0,0] neg_lo:[0,0,1] neg_hi:[0,0,1]
	v_mov_b32_e32 v44, v186
	v_mov_b32_e32 v45, v39
	v_pk_add_f32 v[44:45], v[44:45], v[110:111]
	v_pk_fma_f32 v[110:111], v[46:47], s[2:3], v[48:49] op_sel:[0,0,1] op_sel_hi:[1,0,0]
	v_pk_fma_f32 v[46:47], v[46:47], s[2:3], v[48:49] op_sel:[0,0,1] op_sel_hi:[1,0,0] neg_lo:[0,0,1] neg_hi:[0,0,1]
	v_mov_b32_e32 v48, v110
	v_mov_b32_e32 v49, v47
	v_pk_add_f32 v[44:45], v[48:49], v[44:45]
	v_pk_mul_f32 v[48:49], v[112:113], s[24:25] op_sel_hi:[1,0]
	v_mov_b32_e32 v27, v161
	v_pk_fma_f32 v[112:113], v[50:51], s[16:17], v[48:49] op_sel:[0,0,1] op_sel_hi:[1,0,0]
	v_pk_fma_f32 v[48:49], v[50:51], s[16:17], v[48:49] op_sel:[0,0,1] op_sel_hi:[1,0,0] neg_lo:[0,0,1] neg_hi:[0,0,1]
	v_mov_b32_e32 v33, v35
	v_pk_add_f32 v[26:27], v[10:11], v[26:27]
	v_mov_b32_e32 v50, v112
	v_mov_b32_e32 v51, v49
	v_pk_add_f32 v[26:27], v[32:33], v[26:27]
	v_mov_b32_e32 v39, v187
	v_pk_add_f32 v[44:45], v[50:51], v[44:45]
	v_pk_mul_f32 v[50:51], v[116:117], s[28:29] op_sel_hi:[1,0]
	v_pk_add_f32 v[26:27], v[38:39], v[26:27]
	v_mov_b32_e32 v47, v111
	v_pk_fma_f32 v[116:117], v[114:115], s[8:9], v[50:51] op_sel:[0,0,1] op_sel_hi:[1,0,0]
	v_pk_fma_f32 v[50:51], v[114:115], s[8:9], v[50:51] op_sel:[0,0,1] op_sel_hi:[1,0,0] neg_lo:[0,0,1] neg_hi:[0,0,1]
	v_pk_add_f32 v[26:27], v[46:47], v[26:27]
	v_mov_b32_e32 v49, v113
	v_mov_b32_e32 v114, v116
	v_mov_b32_e32 v115, v51
	v_pk_add_f32 v[26:27], v[48:49], v[26:27]
	v_mov_b32_e32 v51, v117
	v_pk_add_f32 v[44:45], v[114:115], v[44:45]
	v_pk_add_f32 v[26:27], v[50:51], v[26:27]
	ds_write2_b64 v2, v[44:45], v[26:27] offset0:12 offset1:14
	v_pk_add_f32 v[26:27], v[10:11], v[182:183]
	v_mov_b32_e32 v193, v195
	v_pk_add_f32 v[26:27], v[188:189], v[26:27]
	v_pk_add_f32 v[24:25], v[162:163], v[24:25]
	v_mov_b32_e32 v167, v169
	v_pk_add_f32 v[26:27], v[192:193], v[26:27]
	v_mov_b32_e32 v197, v199
	;; [unrolled: 2-line block ×7, first 2 shown]
	v_pk_add_f32 v[26:27], v[204:205], v[26:27]
	v_pk_add_f32 v[24:25], v[178:179], v[24:25]
	v_mov_b32_e32 v133, v135
	v_mov_b32_e32 v7, v1
	ds_write2_b64 v2, v[26:27], v[24:25] offset0:16 offset1:18
	v_pk_add_f32 v[24:25], v[10:11], v[132:133]
	v_mov_b32_e32 v139, v141
	v_pk_add_f32 v[0:1], v[10:11], v[6:7]
	v_mov_b32_e32 v109, v9
	;; [unrolled: 2-line block ×10, first 2 shown]
	v_pk_add_f32 v[24:25], v[156:157], v[24:25]
	v_pk_add_f32 v[0:1], v[128:129], v[0:1]
	v_mov_b32_e32 v17, v3
	ds_write2_b64 v2, v[24:25], v[0:1] offset0:20 offset1:22
	v_pk_add_f32 v[0:1], v[10:11], v[16:17]
	v_mov_b32_e32 v21, v19
	v_pk_add_f32 v[0:1], v[20:21], v[0:1]
	v_mov_b32_e32 v101, v5
	;; [unrolled: 2-line block ×5, first 2 shown]
	v_pk_add_f32 v[0:1], v[106:107], v[0:1]
	ds_write_b64 v2, v[0:1] offset:192
	s_waitcnt lgkmcnt(0)
	; wave barrier
	s_waitcnt lgkmcnt(0)
	ds_read2_b64 v[4:7], v148 offset0:104 offset1:156
	ds_read2_b64 v[100:103], v65 offset0:160 offset1:212
	v_mov_b32_e32 v0, v97
	ds_read2_b64 v[8:11], v61 offset0:80 offset1:132
	ds_read2_b64 v[12:15], v65 offset0:56 offset1:108
	s_waitcnt lgkmcnt(3)
	v_pk_mul_f32 v[0:1], v[0:1], v[6:7] op_sel:[0,1] op_sel_hi:[1,0]
	v_accvgpr_read_b32 v22, a88
	v_pk_fma_f32 v[220:221], v[96:97], v[6:7], v[0:1]
	v_pk_mul_f32 v[0:1], v[96:97], v[6:7] op_sel:[0,1] op_sel_hi:[1,0]
	v_accvgpr_read_b32 v23, a89
	v_mov_b32_e32 v0, v1
	v_pk_fma_f32 v[126:127], v[96:97], v[6:7], v[0:1] op_sel:[0,1,0] op_sel_hi:[1,0,1] neg_lo:[0,0,1] neg_hi:[0,0,1]
	v_mov_b32_e32 v0, v99
	s_waitcnt lgkmcnt(1)
	v_pk_mul_f32 v[0:1], v[0:1], v[10:11] op_sel:[0,1] op_sel_hi:[1,0]
	v_accvgpr_read_b32 v6, a142
	v_pk_fma_f32 v[158:159], v[98:99], v[10:11], v[0:1]
	v_pk_mul_f32 v[0:1], v[98:99], v[10:11] op_sel:[0,1] op_sel_hi:[1,0]
	v_accvgpr_read_b32 v7, a143
	v_mov_b32_e32 v0, v1
	v_pk_fma_f32 v[160:161], v[98:99], v[10:11], v[0:1] op_sel:[0,1,0] op_sel_hi:[1,0,1] neg_lo:[0,0,1] neg_hi:[0,0,1]
	v_mov_b32_e32 v0, v93
	s_waitcnt lgkmcnt(0)
	v_pk_mul_f32 v[0:1], v[0:1], v[14:15] op_sel:[0,1] op_sel_hi:[1,0]
	v_pk_mul_f32 v[6:7], v[6:7], v[102:103]
	v_pk_fma_f32 v[16:17], v[92:93], v[14:15], v[0:1]
	v_pk_mul_f32 v[0:1], v[92:93], v[14:15] op_sel:[0,1] op_sel_hi:[1,0]
	v_accvgpr_read_b32 v10, a156
	v_mov_b32_e32 v0, v1
	v_pk_fma_f32 v[92:93], v[92:93], v[14:15], v[0:1] op_sel:[0,1,0] op_sel_hi:[1,0,1] neg_lo:[0,0,1] neg_hi:[0,0,1]
	ds_read2_b64 v[0:3], v148 offset1:52
	ds_read2_b64 v[96:99], v149 offset0:8 offset1:60
	ds_read2_b64 v[104:107], v149 offset0:112 offset1:164
	;; [unrolled: 1-line block ×5, first 2 shown]
	v_pk_fma_f32 v[122:123], v[94:95], v[102:103], v[6:7] op_sel:[0,0,1] op_sel_hi:[1,1,0]
	v_pk_fma_f32 v[118:119], v[94:95], v[102:103], v[6:7] op_sel:[0,0,1] op_sel_hi:[1,1,0] neg_lo:[0,0,1] neg_hi:[0,0,1]
	s_waitcnt lgkmcnt(4)
	v_pk_mul_f32 v[6:7], v[88:89], v[98:99]
	v_accvgpr_read_b32 v11, a157
	v_pk_fma_f32 v[132:133], v[10:11], v[98:99], v[6:7] op_sel:[0,0,1] op_sel_hi:[1,1,0]
	v_pk_fma_f32 v[20:21], v[10:11], v[98:99], v[6:7] op_sel:[0,0,1] op_sel_hi:[1,1,0] neg_lo:[0,0,1] neg_hi:[0,0,1]
	v_accvgpr_read_b32 v6, a138
	v_accvgpr_read_b32 v7, a139
	s_waitcnt lgkmcnt(3)
	v_pk_mul_f32 v[6:7], v[6:7], v[106:107]
	v_accvgpr_read_b32 v10, a154
	v_pk_fma_f32 v[120:121], v[90:91], v[106:107], v[6:7] op_sel:[0,0,1] op_sel_hi:[1,1,0]
	v_pk_fma_f32 v[18:19], v[90:91], v[106:107], v[6:7] op_sel:[0,0,1] op_sel_hi:[1,1,0] neg_lo:[0,0,1] neg_hi:[0,0,1]
	s_waitcnt lgkmcnt(2)
	v_pk_mul_f32 v[6:7], v[84:85], v[110:111]
	v_accvgpr_read_b32 v11, a155
	v_pk_fma_f32 v[138:139], v[10:11], v[110:111], v[6:7] op_sel:[0,0,1] op_sel_hi:[1,1,0]
	v_pk_fma_f32 v[90:91], v[10:11], v[110:111], v[6:7] op_sel:[0,0,1] op_sel_hi:[1,1,0] neg_lo:[0,0,1] neg_hi:[0,0,1]
	v_accvgpr_read_b32 v6, a134
	v_accvgpr_read_b32 v7, a135
	s_waitcnt lgkmcnt(1)
	v_pk_mul_f32 v[6:7], v[6:7], v[114:115]
	v_pk_mul_f32 v[22:23], v[22:23], v[100:101]
	v_pk_fma_f32 v[168:169], v[86:87], v[114:115], v[6:7] op_sel:[0,0,1] op_sel_hi:[1,1,0]
	v_pk_fma_f32 v[166:167], v[86:87], v[114:115], v[6:7] op_sel:[0,0,1] op_sel_hi:[1,1,0] neg_lo:[0,0,1] neg_hi:[0,0,1]
	v_accvgpr_read_b32 v117, a61
	v_accvgpr_read_b32 v116, a60
	v_pk_fma_f32 v[34:35], v[116:117], v[100:101], v[22:23] op_sel:[0,0,1] op_sel_hi:[1,1,0]
	v_pk_fma_f32 v[22:23], v[116:117], v[100:101], v[22:23] op_sel:[0,0,1] op_sel_hi:[1,1,0] neg_lo:[0,0,1] neg_hi:[0,0,1]
	v_accvgpr_read_b32 v26, a82
	v_mov_b32_e32 v35, v23
	v_accvgpr_read_b32 v22, a66
	v_accvgpr_read_b32 v23, a67
	v_pk_mul_f32 v[22:23], v[22:23], v[96:97]
	v_accvgpr_read_b32 v27, a83
	v_pk_fma_f32 v[38:39], v[26:27], v[96:97], v[22:23] op_sel:[0,0,1] op_sel_hi:[1,1,0]
	v_pk_fma_f32 v[22:23], v[26:27], v[96:97], v[22:23] op_sel:[0,0,1] op_sel_hi:[1,1,0] neg_lo:[0,0,1] neg_hi:[0,0,1]
	v_accvgpr_read_b32 v24, a68
	v_mov_b32_e32 v39, v23
	v_accvgpr_read_b32 v22, a80
	v_accvgpr_read_b32 v23, a81
	;; [unrolled: 1-line block ×3, first 2 shown]
	v_pk_mul_f32 v[22:23], v[22:23], v[104:105]
	v_accvgpr_read_b32 v26, a76
	v_pk_fma_f32 v[44:45], v[24:25], v[104:105], v[22:23] op_sel:[0,0,1] op_sel_hi:[1,1,0]
	v_pk_fma_f32 v[22:23], v[24:25], v[104:105], v[22:23] op_sel:[0,0,1] op_sel_hi:[1,1,0] neg_lo:[0,0,1] neg_hi:[0,0,1]
	v_accvgpr_read_b32 v27, a77
	v_mov_b32_e32 v45, v23
	v_accvgpr_read_b32 v22, a62
	v_accvgpr_read_b32 v23, a63
	v_pk_mul_f32 v[22:23], v[22:23], v[108:109]
	v_accvgpr_read_b32 v24, a64
	v_pk_fma_f32 v[46:47], v[26:27], v[108:109], v[22:23] op_sel:[0,0,1] op_sel_hi:[1,1,0]
	v_pk_fma_f32 v[22:23], v[26:27], v[108:109], v[22:23] op_sel:[0,0,1] op_sel_hi:[1,1,0] neg_lo:[0,0,1] neg_hi:[0,0,1]
	v_accvgpr_read_b32 v25, a65
	v_mov_b32_e32 v47, v23
	v_accvgpr_read_b32 v22, a74
	v_accvgpr_read_b32 v23, a75
	v_pk_mul_f32 v[22:23], v[22:23], v[112:113]
	v_accvgpr_read_b32 v26, a86
	v_pk_fma_f32 v[48:49], v[24:25], v[112:113], v[22:23] op_sel:[0,0,1] op_sel_hi:[1,1,0]
	v_pk_fma_f32 v[22:23], v[24:25], v[112:113], v[22:23] op_sel:[0,0,1] op_sel_hi:[1,1,0] neg_lo:[0,0,1] neg_hi:[0,0,1]
	ds_read2_b64 v[140:143], v63 offset0:16 offset1:68
	ds_read2_b64 v[162:165], v63 offset0:120 offset1:172
	v_mov_b32_e32 v49, v23
	v_accvgpr_read_b32 v22, a70
	v_accvgpr_read_b32 v23, a71
	s_waitcnt lgkmcnt(2)
	v_pk_mul_f32 v[22:23], v[22:23], v[128:129]
	v_accvgpr_read_b32 v27, a87
	v_pk_fma_f32 v[36:37], v[26:27], v[128:129], v[22:23] op_sel:[0,0,1] op_sel_hi:[1,1,0]
	v_pk_fma_f32 v[22:23], v[26:27], v[128:129], v[22:23] op_sel:[0,0,1] op_sel_hi:[1,1,0] neg_lo:[0,0,1] neg_hi:[0,0,1]
	v_accvgpr_read_b32 v24, a72
	v_mov_b32_e32 v37, v23
	v_accvgpr_read_b32 v22, a84
	v_accvgpr_read_b32 v23, a85
	;; [unrolled: 1-line block ×3, first 2 shown]
	s_waitcnt lgkmcnt(1)
	v_pk_mul_f32 v[22:23], v[22:23], v[140:141]
	ds_read2_b64 v[174:177], v55 offset0:96 offset1:148
	v_pk_fma_f32 v[32:33], v[24:25], v[140:141], v[22:23] op_sel:[0,0,1] op_sel_hi:[1,1,0]
	v_pk_fma_f32 v[22:23], v[24:25], v[140:141], v[22:23] op_sel:[0,0,1] op_sel_hi:[1,1,0] neg_lo:[0,0,1] neg_hi:[0,0,1]
	v_accvgpr_read_b32 v24, a150
	v_mov_b32_e32 v33, v23
	s_waitcnt lgkmcnt(1)
	v_pk_mul_f32 v[22:23], v[40:41], v[162:163]
	v_accvgpr_read_b32 v25, a151
	v_pk_fma_f32 v[26:27], v[24:25], v[162:163], v[22:23] op_sel:[0,0,1] op_sel_hi:[1,1,0]
	v_pk_fma_f32 v[22:23], v[24:25], v[162:163], v[22:23] op_sel:[0,0,1] op_sel_hi:[1,1,0] neg_lo:[0,0,1] neg_hi:[0,0,1]
	v_accvgpr_read_b32 v115, a59
	v_mov_b32_e32 v27, v23
	v_accvgpr_read_b32 v22, a78
	v_accvgpr_read_b32 v23, a79
	s_waitcnt lgkmcnt(0)
	v_pk_mul_f32 v[22:23], v[22:23], v[174:175]
	v_accvgpr_read_b32 v114, a58
	v_pk_fma_f32 v[24:25], v[42:43], v[174:175], v[22:23] op_sel:[0,0,1] op_sel_hi:[1,1,0]
	v_pk_fma_f32 v[22:23], v[42:43], v[174:175], v[22:23] op_sel:[0,0,1] op_sel_hi:[1,1,0] neg_lo:[0,0,1] neg_hi:[0,0,1]
	v_accvgpr_read_b32 v10, a152
	v_mov_b32_e32 v25, v23
	v_pk_mul_f32 v[22:23], v[28:29], v[4:5] op_sel:[1,0]
	v_pk_mul_f32 v[6:7], v[80:81], v[130:131]
	v_pk_fma_f32 v[40:41], v[28:29], v[4:5], v[22:23] op_sel:[0,0,1] op_sel_hi:[1,1,0]
	v_pk_fma_f32 v[4:5], v[28:29], v[4:5], v[22:23] op_sel:[0,0,1] op_sel_hi:[0,1,0] neg_lo:[0,0,1] neg_hi:[0,0,1]
	v_mov_b32_e32 v41, v5
	v_pk_mul_f32 v[4:5], v[30:31], v[8:9] op_sel:[1,0]
	v_accvgpr_read_b32 v11, a153
	v_pk_fma_f32 v[28:29], v[30:31], v[8:9], v[4:5] op_sel:[0,0,1] op_sel_hi:[1,1,0]
	v_pk_fma_f32 v[4:5], v[30:31], v[8:9], v[4:5] op_sel:[0,0,1] op_sel_hi:[0,1,0] neg_lo:[0,0,1] neg_hi:[0,0,1]
	v_mov_b32_e32 v29, v5
	v_pk_mul_f32 v[4:5], v[114:115], v[12:13] op_sel:[1,0]
	v_pk_fma_f32 v[84:85], v[10:11], v[130:131], v[6:7] op_sel:[0,0,1] op_sel_hi:[1,1,0]
	v_pk_fma_f32 v[8:9], v[114:115], v[12:13], v[4:5] op_sel:[0,0,1] op_sel_hi:[1,1,0]
	v_pk_fma_f32 v[4:5], v[114:115], v[12:13], v[4:5] op_sel:[0,0,1] op_sel_hi:[0,1,0] neg_lo:[0,0,1] neg_hi:[0,0,1]
	v_pk_fma_f32 v[80:81], v[10:11], v[130:131], v[6:7] op_sel:[0,0,1] op_sel_hi:[1,1,0] neg_lo:[0,0,1] neg_hi:[0,0,1]
	v_accvgpr_read_b32 v6, a140
	v_mov_b32_e32 v9, v5
	v_pk_add_f32 v[4:5], v[0:1], v[40:41]
	v_accvgpr_read_b32 v7, a141
	v_pk_add_f32 v[4:5], v[4:5], v[28:29]
	v_pk_mul_f32 v[6:7], v[6:7], v[142:143]
	v_accvgpr_read_b32 v10, a136
	v_pk_add_f32 v[4:5], v[4:5], v[8:9]
	v_pk_fma_f32 v[86:87], v[82:83], v[142:143], v[6:7] op_sel:[0,0,1] op_sel_hi:[1,1,0]
	v_pk_fma_f32 v[82:83], v[82:83], v[142:143], v[6:7] op_sel:[0,0,1] op_sel_hi:[1,1,0] neg_lo:[0,0,1] neg_hi:[0,0,1]
	v_pk_mul_f32 v[6:7], v[76:77], v[164:165]
	v_accvgpr_read_b32 v11, a137
	v_pk_add_f32 v[4:5], v[4:5], v[34:35]
	v_pk_fma_f32 v[76:77], v[10:11], v[164:165], v[6:7] op_sel:[0,0,1] op_sel_hi:[1,1,0]
	v_pk_fma_f32 v[14:15], v[10:11], v[164:165], v[6:7] op_sel:[0,0,1] op_sel_hi:[1,1,0] neg_lo:[0,0,1] neg_hi:[0,0,1]
	v_accvgpr_read_b32 v6, a132
	v_pk_add_f32 v[4:5], v[4:5], v[38:39]
	v_accvgpr_read_b32 v7, a133
	v_pk_add_f32 v[4:5], v[4:5], v[44:45]
	v_pk_mul_f32 v[6:7], v[6:7], v[176:177]
	v_pk_add_f32 v[4:5], v[4:5], v[46:47]
	v_pk_fma_f32 v[88:89], v[78:79], v[176:177], v[6:7] op_sel:[0,0,1] op_sel_hi:[1,1,0]
	v_pk_add_f32 v[4:5], v[4:5], v[48:49]
	v_pk_fma_f32 v[78:79], v[78:79], v[176:177], v[6:7] op_sel:[0,0,1] op_sel_hi:[1,1,0] neg_lo:[0,0,1] neg_hi:[0,0,1]
	v_pk_add_f32 v[6:7], v[220:221], v[88:89]
	v_pk_add_f32 v[10:11], v[220:221], v[88:89] neg_lo:[0,1] neg_hi:[0,1]
	v_pk_add_f32 v[4:5], v[4:5], v[36:37]
	v_mov_b32_e32 v7, v10
	s_mov_b32 s31, s0
	s_mov_b32 s1, s30
	v_pk_add_f32 v[4:5], v[4:5], v[32:33]
	v_pk_add_f32 v[190:191], v[40:41], v[24:25] neg_lo:[0,1] neg_hi:[0,1]
	v_pk_mul_f32 v[10:11], v[6:7], s[0:1]
	s_mov_b32 s11, s2
	s_mov_b32 s1, s34
	v_pk_add_f32 v[4:5], v[4:5], v[26:27]
	v_pk_add_f32 v[184:185], v[40:41], v[24:25]
	v_pk_mul_f32 v[12:13], v[190:191], s[30:31] op_sel_hi:[1,0]
	v_pk_add_f32 v[192:193], v[28:29], v[26:27] neg_lo:[0,1] neg_hi:[0,1]
	s_mov_b32 s3, s10
	v_pk_add_f32 v[4:5], v[4:5], v[24:25]
	v_pk_fma_f32 v[22:23], v[184:185], s[0:1], v[12:13] op_sel:[0,0,1] op_sel_hi:[1,0,0]
	v_pk_fma_f32 v[24:25], v[184:185], s[0:1], v[12:13] op_sel:[0,0,1] op_sel_hi:[1,0,0] neg_lo:[0,0,1] neg_hi:[0,0,1]
	v_pk_add_f32 v[188:189], v[28:29], v[26:27]
	v_pk_mul_f32 v[28:29], v[192:193], s[10:11] op_sel_hi:[1,0]
	s_mov_b32 s21, s8
	v_mov_b32_e32 v12, v22
	v_mov_b32_e32 v13, v25
	v_pk_fma_f32 v[26:27], v[188:189], s[2:3], v[28:29] op_sel:[0,0,1] op_sel_hi:[1,0,0]
	v_pk_fma_f32 v[28:29], v[188:189], s[2:3], v[28:29] op_sel:[0,0,1] op_sel_hi:[1,0,0] neg_lo:[0,0,1] neg_hi:[0,0,1]
	v_pk_add_f32 v[134:135], v[8:9], v[32:33] neg_lo:[0,1] neg_hi:[0,1]
	s_mov_b32 s9, s28
	v_pk_add_f32 v[12:13], v[0:1], v[12:13]
	v_mov_b32_e32 v30, v26
	v_mov_b32_e32 v31, v29
	v_pk_add_f32 v[186:187], v[8:9], v[32:33]
	v_pk_mul_f32 v[8:9], v[134:135], s[20:21] op_sel_hi:[1,0]
	v_pk_add_f32 v[12:13], v[30:31], v[12:13]
	v_pk_fma_f32 v[30:31], v[186:187], s[8:9], v[8:9] op_sel:[0,0,1] op_sel_hi:[1,0,0]
	v_pk_fma_f32 v[32:33], v[186:187], s[8:9], v[8:9] op_sel:[0,0,1] op_sel_hi:[1,0,0] neg_lo:[0,0,1] neg_hi:[0,0,1]
	s_mov_b32 s25, s16
	v_mov_b32_e32 v8, v30
	v_mov_b32_e32 v9, v33
	v_pk_add_f32 v[196:197], v[34:35], v[36:37] neg_lo:[0,1] neg_hi:[0,1]
	s_mov_b32 s17, s24
	v_pk_add_f32 v[8:9], v[8:9], v[12:13]
	v_pk_add_f32 v[128:129], v[34:35], v[36:37]
	v_pk_mul_f32 v[12:13], v[196:197], s[24:25] op_sel_hi:[1,0]
	s_mov_b32 s23, s18
	v_pk_fma_f32 v[34:35], v[128:129], s[16:17], v[12:13] op_sel:[0,0,1] op_sel_hi:[1,0,0]
	v_pk_fma_f32 v[36:37], v[128:129], s[16:17], v[12:13] op_sel:[0,0,1] op_sel_hi:[1,0,0] neg_lo:[0,0,1] neg_hi:[0,0,1]
	v_mov_b32_e32 v12, v34
	v_mov_b32_e32 v13, v37
	v_pk_add_f32 v[202:203], v[38:39], v[48:49] neg_lo:[0,1] neg_hi:[0,1]
	s_mov_b32 s19, s36
	v_pk_add_f32 v[8:9], v[12:13], v[8:9]
	v_pk_add_f32 v[194:195], v[38:39], v[48:49]
	v_pk_mul_f32 v[12:13], v[202:203], s[22:23] op_sel_hi:[1,0]
	s_mov_b32 s27, s14
	v_pk_fma_f32 v[38:39], v[194:195], s[18:19], v[12:13] op_sel:[0,0,1] op_sel_hi:[1,0,0]
	v_pk_fma_f32 v[40:41], v[194:195], s[18:19], v[12:13] op_sel:[0,0,1] op_sel_hi:[1,0,0] neg_lo:[0,0,1] neg_hi:[0,0,1]
	v_mov_b32_e32 v12, v38
	v_mov_b32_e32 v13, v41
	v_pk_add_f32 v[204:205], v[44:45], v[46:47] neg_lo:[0,1] neg_hi:[0,1]
	s_mov_b32 s15, s26
	v_pk_add_f32 v[8:9], v[12:13], v[8:9]
	v_pk_add_f32 v[198:199], v[44:45], v[46:47]
	v_pk_mul_f32 v[12:13], v[204:205], s[26:27] op_sel_hi:[1,0]
	v_accvgpr_read_b32 v26, a91
	v_pk_fma_f32 v[42:43], v[198:199], s[14:15], v[12:13] op_sel:[0,0,1] op_sel_hi:[1,0,0]
	v_pk_fma_f32 v[44:45], v[198:199], s[14:15], v[12:13] op_sel:[0,0,1] op_sel_hi:[1,0,0] neg_lo:[0,0,1] neg_hi:[0,0,1]
	v_mov_b32_e32 v12, v42
	v_mov_b32_e32 v13, v45
	v_pk_add_f32 v[8:9], v[12:13], v[8:9]
	s_waitcnt lgkmcnt(0)
	; wave barrier
	ds_write2_b64 v26, v[4:5], v[8:9] offset1:26
	v_pk_mul_f32 v[4:5], v[190:191], s[10:11] op_sel_hi:[1,0]
	v_pk_mul_f32 v[8:9], v[192:193], s[24:25] op_sel_hi:[1,0]
	v_pk_fma_f32 v[94:95], v[184:185], s[2:3], v[4:5] op_sel:[0,0,1] op_sel_hi:[1,0,0]
	v_pk_fma_f32 v[96:97], v[184:185], s[2:3], v[4:5] op_sel:[0,0,1] op_sel_hi:[1,0,0] neg_lo:[0,0,1] neg_hi:[0,0,1]
	v_mov_b32_e32 v4, v94
	v_mov_b32_e32 v5, v97
	v_pk_fma_f32 v[98:99], v[188:189], s[16:17], v[8:9] op_sel:[0,0,1] op_sel_hi:[1,0,0]
	v_pk_fma_f32 v[100:101], v[188:189], s[16:17], v[8:9] op_sel:[0,0,1] op_sel_hi:[1,0,0] neg_lo:[0,0,1] neg_hi:[0,0,1]
	v_pk_add_f32 v[4:5], v[0:1], v[4:5]
	v_mov_b32_e32 v8, v98
	v_mov_b32_e32 v9, v101
	v_pk_add_f32 v[4:5], v[8:9], v[4:5]
	v_pk_mul_f32 v[8:9], v[134:135], s[26:27] op_sel_hi:[1,0]
	s_mov_b32 s37, s18
	v_pk_fma_f32 v[102:103], v[186:187], s[14:15], v[8:9] op_sel:[0,0,1] op_sel_hi:[1,0,0]
	v_pk_fma_f32 v[104:105], v[186:187], s[14:15], v[8:9] op_sel:[0,0,1] op_sel_hi:[1,0,0] neg_lo:[0,0,1] neg_hi:[0,0,1]
	v_mov_b32_e32 v8, v102
	v_mov_b32_e32 v9, v105
	v_pk_add_f32 v[4:5], v[8:9], v[4:5]
	v_pk_mul_f32 v[8:9], v[196:197], s[36:37] op_sel_hi:[1,0]
	s_mov_b32 s29, s8
	v_pk_fma_f32 v[106:107], v[128:129], s[18:19], v[8:9] op_sel:[0,0,1] op_sel_hi:[1,0,0]
	v_pk_fma_f32 v[108:109], v[128:129], s[18:19], v[8:9] op_sel:[0,0,1] op_sel_hi:[1,0,0] neg_lo:[0,0,1] neg_hi:[0,0,1]
	;; [unrolled: 7-line block ×3, first 2 shown]
	v_mov_b32_e32 v8, v110
	v_mov_b32_e32 v9, v113
	v_pk_add_f32 v[4:5], v[8:9], v[4:5]
	v_pk_mul_f32 v[8:9], v[204:205], s[34:35] op_sel_hi:[1,0]
	v_pk_mul_f32 v[12:13], v[192:193], s[26:27] op_sel_hi:[1,0]
	v_pk_fma_f32 v[114:115], v[198:199], s[0:1], v[8:9] op_sel:[0,0,1] op_sel_hi:[1,0,0]
	v_pk_fma_f32 v[116:117], v[198:199], s[0:1], v[8:9] op_sel:[0,0,1] op_sel_hi:[1,0,0] neg_lo:[0,0,1] neg_hi:[0,0,1]
	v_mov_b32_e32 v8, v114
	v_mov_b32_e32 v9, v117
	v_pk_add_f32 v[4:5], v[8:9], v[4:5]
	v_pk_mul_f32 v[8:9], v[190:191], s[20:21] op_sel_hi:[1,0]
	v_pk_fma_f32 v[152:153], v[188:189], s[14:15], v[12:13] op_sel:[0,0,1] op_sel_hi:[1,0,0]
	v_pk_fma_f32 v[130:131], v[184:185], s[8:9], v[8:9] op_sel:[0,0,1] op_sel_hi:[1,0,0]
	v_pk_fma_f32 v[150:151], v[184:185], s[8:9], v[8:9] op_sel:[0,0,1] op_sel_hi:[1,0,0] neg_lo:[0,0,1] neg_hi:[0,0,1]
	v_mov_b32_e32 v8, v130
	v_mov_b32_e32 v9, v151
	v_pk_fma_f32 v[154:155], v[188:189], s[14:15], v[12:13] op_sel:[0,0,1] op_sel_hi:[1,0,0] neg_lo:[0,0,1] neg_hi:[0,0,1]
	v_pk_add_f32 v[8:9], v[0:1], v[8:9]
	v_mov_b32_e32 v12, v152
	v_mov_b32_e32 v13, v155
	v_pk_add_f32 v[8:9], v[12:13], v[8:9]
	v_pk_mul_f32 v[12:13], v[134:135], s[42:43] op_sel_hi:[1,0]
	v_pk_add_f32 v[46:47], v[120:121], v[138:139] neg_lo:[0,1] neg_hi:[0,1]
	v_pk_fma_f32 v[156:157], v[186:187], s[16:17], v[12:13] op_sel:[0,0,1] op_sel_hi:[1,0,0]
	v_pk_fma_f32 v[206:207], v[186:187], s[16:17], v[12:13] op_sel:[0,0,1] op_sel_hi:[1,0,0] neg_lo:[0,0,1] neg_hi:[0,0,1]
	v_mov_b32_e32 v12, v156
	v_mov_b32_e32 v13, v207
	v_pk_add_f32 v[8:9], v[12:13], v[8:9]
	v_pk_mul_f32 v[12:13], v[196:197], s[34:35] op_sel_hi:[1,0]
	v_mov_b32_e32 v25, v126
	v_pk_fma_f32 v[208:209], v[128:129], s[0:1], v[12:13] op_sel:[0,0,1] op_sel_hi:[1,0,0]
	v_pk_fma_f32 v[210:211], v[128:129], s[0:1], v[12:13] op_sel:[0,0,1] op_sel_hi:[1,0,0] neg_lo:[0,0,1] neg_hi:[0,0,1]
	v_mov_b32_e32 v12, v208
	v_mov_b32_e32 v13, v211
	v_pk_add_f32 v[8:9], v[12:13], v[8:9]
	v_pk_mul_f32 v[12:13], v[202:203], s[10:11] op_sel_hi:[1,0]
	v_pk_add_f32 v[48:49], v[2:3], v[24:25]
	v_pk_fma_f32 v[212:213], v[194:195], s[2:3], v[12:13] op_sel:[0,0,1] op_sel_hi:[1,0,0]
	v_pk_fma_f32 v[214:215], v[194:195], s[2:3], v[12:13] op_sel:[0,0,1] op_sel_hi:[1,0,0] neg_lo:[0,0,1] neg_hi:[0,0,1]
	v_mov_b32_e32 v12, v212
	v_mov_b32_e32 v13, v215
	v_pk_add_f32 v[8:9], v[12:13], v[8:9]
	v_pk_mul_f32 v[12:13], v[204:205], s[22:23] op_sel_hi:[1,0]
	v_mov_b32_e32 v48, v158
	v_pk_fma_f32 v[216:217], v[198:199], s[18:19], v[12:13] op_sel:[0,0,1] op_sel_hi:[1,0,0]
	v_pk_fma_f32 v[218:219], v[198:199], s[18:19], v[12:13] op_sel:[0,0,1] op_sel_hi:[1,0,0] neg_lo:[0,0,1] neg_hi:[0,0,1]
	v_mov_b32_e32 v12, v216
	v_mov_b32_e32 v13, v219
	v_pk_add_f32 v[8:9], v[12:13], v[8:9]
	ds_write2_b64 v26, v[4:5], v[8:9] offset0:52 offset1:78
	v_pk_mul_f32 v[4:5], v[190:191], s[24:25] op_sel_hi:[1,0]
	v_pk_mul_f32 v[8:9], v[192:193], s[36:37] op_sel_hi:[1,0]
	v_pk_fma_f32 v[164:165], v[184:185], s[16:17], v[4:5] op_sel:[0,0,1] op_sel_hi:[1,0,0]
	v_pk_fma_f32 v[236:237], v[184:185], s[16:17], v[4:5] op_sel:[0,0,1] op_sel_hi:[1,0,0] neg_lo:[0,0,1] neg_hi:[0,0,1]
	v_mov_b32_e32 v4, v164
	v_mov_b32_e32 v5, v237
	v_pk_fma_f32 v[162:163], v[188:189], s[18:19], v[8:9] op_sel:[0,0,1] op_sel_hi:[1,0,0]
	v_pk_fma_f32 v[142:143], v[188:189], s[18:19], v[8:9] op_sel:[0,0,1] op_sel_hi:[1,0,0] neg_lo:[0,0,1] neg_hi:[0,0,1]
	v_pk_add_f32 v[4:5], v[0:1], v[4:5]
	v_mov_b32_e32 v8, v162
	v_mov_b32_e32 v9, v143
	v_pk_add_f32 v[4:5], v[8:9], v[4:5]
	v_pk_mul_f32 v[8:9], v[134:135], s[34:35] op_sel_hi:[1,0]
	v_pk_mul_f32 v[12:13], v[192:193], s[28:29] op_sel_hi:[1,0]
	v_pk_fma_f32 v[250:251], v[186:187], s[0:1], v[8:9] op_sel:[0,0,1] op_sel_hi:[1,0,0]
	v_pk_fma_f32 v[228:229], v[186:187], s[0:1], v[8:9] op_sel:[0,0,1] op_sel_hi:[1,0,0] neg_lo:[0,0,1] neg_hi:[0,0,1]
	v_mov_b32_e32 v8, v250
	v_mov_b32_e32 v9, v229
	v_pk_add_f32 v[4:5], v[8:9], v[4:5]
	v_pk_mul_f32 v[8:9], v[196:197], s[20:21] op_sel_hi:[1,0]
	v_pk_fma_f32 v[124:125], v[188:189], s[8:9], v[12:13] op_sel:[0,0,1] op_sel_hi:[1,0,0]
	v_pk_fma_f32 v[230:231], v[128:129], s[8:9], v[8:9] op_sel:[0,0,1] op_sel_hi:[1,0,0]
	v_pk_fma_f32 v[224:225], v[128:129], s[8:9], v[8:9] op_sel:[0,0,1] op_sel_hi:[1,0,0] neg_lo:[0,0,1] neg_hi:[0,0,1]
	v_mov_b32_e32 v8, v230
	v_mov_b32_e32 v9, v225
	v_pk_add_f32 v[4:5], v[8:9], v[4:5]
	v_pk_mul_f32 v[8:9], v[202:203], s[40:41] op_sel_hi:[1,0]
	v_pk_fma_f32 v[146:147], v[188:189], s[8:9], v[12:13] op_sel:[0,0,1] op_sel_hi:[1,0,0] neg_lo:[0,0,1] neg_hi:[0,0,1]
	v_pk_fma_f32 v[226:227], v[194:195], s[14:15], v[8:9] op_sel:[0,0,1] op_sel_hi:[1,0,0]
	v_pk_fma_f32 v[222:223], v[194:195], s[14:15], v[8:9] op_sel:[0,0,1] op_sel_hi:[1,0,0] neg_lo:[0,0,1] neg_hi:[0,0,1]
	v_mov_b32_e32 v8, v226
	v_mov_b32_e32 v9, v223
	v_pk_add_f32 v[4:5], v[8:9], v[4:5]
	v_pk_mul_f32 v[8:9], v[204:205], s[38:39] op_sel_hi:[1,0]
	v_mov_b32_e32 v12, v124
	v_pk_fma_f32 v[232:233], v[198:199], s[2:3], v[8:9] op_sel:[0,0,1] op_sel_hi:[1,0,0]
	v_pk_fma_f32 v[234:235], v[198:199], s[2:3], v[8:9] op_sel:[0,0,1] op_sel_hi:[1,0,0] neg_lo:[0,0,1] neg_hi:[0,0,1]
	v_mov_b32_e32 v8, v232
	v_mov_b32_e32 v9, v235
	v_pk_add_f32 v[4:5], v[8:9], v[4:5]
	v_pk_mul_f32 v[8:9], v[190:191], s[22:23] op_sel_hi:[1,0]
	v_mov_b32_e32 v13, v147
	v_pk_fma_f32 v[170:171], v[184:185], s[18:19], v[8:9] op_sel:[0,0,1] op_sel_hi:[1,0,0]
	v_pk_fma_f32 v[238:239], v[184:185], s[18:19], v[8:9] op_sel:[0,0,1] op_sel_hi:[1,0,0] neg_lo:[0,0,1] neg_hi:[0,0,1]
	v_mov_b32_e32 v8, v170
	v_mov_b32_e32 v9, v239
	v_pk_add_f32 v[8:9], v[0:1], v[8:9]
	v_mov_b32_e32 v89, v79
	v_pk_add_f32 v[8:9], v[12:13], v[8:9]
	v_pk_mul_f32 v[12:13], v[134:135], s[10:11] op_sel_hi:[1,0]
	v_pk_add_f32 v[50:51], v[160:161], v[14:15] op_sel:[0,1] neg_lo:[0,1] neg_hi:[0,1]
	v_pk_fma_f32 v[140:141], v[186:187], s[2:3], v[12:13] op_sel:[0,0,1] op_sel_hi:[1,0,0]
	v_pk_fma_f32 v[246:247], v[186:187], s[2:3], v[12:13] op_sel:[0,0,1] op_sel_hi:[1,0,0] neg_lo:[0,0,1] neg_hi:[0,0,1]
	v_mov_b32_e32 v12, v140
	v_mov_b32_e32 v13, v247
	v_pk_add_f32 v[8:9], v[12:13], v[8:9]
	v_pk_mul_f32 v[12:13], v[196:197], s[40:41] op_sel_hi:[1,0]
	v_pk_add_f32 v[248:249], v[92:93], v[82:83] op_sel:[0,1] neg_lo:[0,1] neg_hi:[0,1]
	v_pk_fma_f32 v[200:201], v[128:129], s[14:15], v[12:13] op_sel:[0,0,1] op_sel_hi:[1,0,0]
	v_pk_fma_f32 v[182:183], v[128:129], s[14:15], v[12:13] op_sel:[0,0,1] op_sel_hi:[1,0,0] neg_lo:[0,0,1] neg_hi:[0,0,1]
	v_mov_b32_e32 v12, v200
	v_mov_b32_e32 v13, v183
	v_pk_add_f32 v[8:9], v[12:13], v[8:9]
	v_pk_mul_f32 v[12:13], v[202:203], s[34:35] op_sel_hi:[1,0]
	v_mov_b32_e32 v239, v171
	v_pk_fma_f32 v[180:181], v[194:195], s[0:1], v[12:13] op_sel:[0,0,1] op_sel_hi:[1,0,0]
	v_pk_fma_f32 v[178:179], v[194:195], s[0:1], v[12:13] op_sel:[0,0,1] op_sel_hi:[1,0,0] neg_lo:[0,0,1] neg_hi:[0,0,1]
	v_mov_b32_e32 v12, v180
	v_mov_b32_e32 v13, v179
	v_pk_add_f32 v[8:9], v[12:13], v[8:9]
	v_pk_mul_f32 v[12:13], v[204:205], s[24:25] op_sel_hi:[1,0]
	v_mov_b32_e32 v237, v165
	v_pk_fma_f32 v[176:177], v[198:199], s[16:17], v[12:13] op_sel:[0,0,1] op_sel_hi:[1,0,0]
	v_pk_fma_f32 v[174:175], v[198:199], s[16:17], v[12:13] op_sel:[0,0,1] op_sel_hi:[1,0,0] neg_lo:[0,0,1] neg_hi:[0,0,1]
	v_mov_b32_e32 v12, v176
	v_mov_b32_e32 v13, v175
	v_pk_add_f32 v[8:9], v[12:13], v[8:9]
	ds_write2_b64 v26, v[4:5], v[8:9] offset0:104 offset1:130
	v_pk_add_f32 v[8:9], v[132:133], v[168:169]
	v_pk_add_f32 v[4:5], v[132:133], v[168:169] neg_lo:[0,1] neg_hi:[0,1]
	v_mov_b32_e32 v133, v21
	v_mov_b32_e32 v9, v4
	v_pk_add_f32 v[4:5], v[120:121], v[138:139]
	v_mov_b32_e32 v121, v19
	v_mov_b32_e32 v5, v46
	v_pk_add_f32 v[46:47], v[2:3], v[220:221]
	v_mov_b32_e32 v139, v91
	v_mov_b32_e32 v47, v49
	;; [unrolled: 1-line block ×3, first 2 shown]
	v_pk_add_f32 v[46:47], v[46:47], v[48:49]
	v_mov_b32_e32 v48, v16
	v_mov_b32_e32 v49, v92
	v_pk_add_f32 v[46:47], v[46:47], v[48:49]
	v_mov_b32_e32 v48, v122
	v_mov_b32_e32 v49, v119
	v_pk_add_f32 v[46:47], v[46:47], v[48:49]
	v_mov_b32_e32 v12, v168
	v_pk_add_f32 v[46:47], v[46:47], v[132:133]
	;; [unrolled: 2-line block ×3, first 2 shown]
	v_pk_add_f32 v[48:49], v[126:127], v[78:79] op_sel:[0,1] neg_lo:[0,1] neg_hi:[0,1]
	v_pk_add_f32 v[46:47], v[46:47], v[138:139]
	v_pk_add_f32 v[168:169], v[20:21], v[166:167] neg_lo:[0,1] neg_hi:[0,1]
	v_pk_add_f32 v[12:13], v[46:47], v[12:13]
	v_mov_b32_e32 v46, v84
	v_mov_b32_e32 v47, v81
	v_pk_add_f32 v[12:13], v[12:13], v[46:47]
	v_mov_b32_e32 v46, v86
	v_mov_b32_e32 v47, v83
	;; [unrolled: 3-line block ×3, first 2 shown]
	v_pk_add_f32 v[12:13], v[12:13], v[46:47]
	v_pk_add_f32 v[46:47], v[158:159], v[76:77] neg_lo:[0,1] neg_hi:[0,1]
	v_pk_add_f32 v[220:221], v[12:13], v[88:89]
	v_pk_add_f32 v[88:89], v[126:127], v[78:79] op_sel_hi:[0,1]
	v_pk_add_f32 v[12:13], v[158:159], v[76:77]
	v_mov_b32_e32 v88, v48
	v_mov_b32_e32 v13, v46
	v_pk_add_f32 v[46:47], v[160:161], v[14:15] op_sel_hi:[0,1]
	v_pk_fma_f32 v[14:15], v[48:49], s[30:31], v[10:11] neg_lo:[1,0,0] neg_hi:[1,0,0]
	v_pk_fma_f32 v[120:121], v[88:89], s[30:31], v[10:11]
	v_mov_b32_e32 v46, v50
	v_pk_mul_f32 v[132:133], v[12:13], s[2:3]
	v_mov_b32_e32 v15, v121
	v_pk_fma_f32 v[48:49], v[50:51], s[10:11], v[132:133] neg_lo:[1,0,0] neg_hi:[1,0,0]
	v_pk_fma_f32 v[126:127], v[46:47], s[10:11], v[132:133]
	v_pk_add_f32 v[14:15], v[2:3], v[14:15]
	v_mov_b32_e32 v49, v127
	v_pk_add_f32 v[48:49], v[48:49], v[14:15]
	v_pk_add_f32 v[14:15], v[16:17], v[86:87]
	v_pk_add_f32 v[16:17], v[16:17], v[86:87] neg_lo:[0,1] neg_hi:[0,1]
	v_pk_add_f32 v[20:21], v[20:21], v[166:167]
	v_pk_add_f32 v[166:167], v[18:19], v[90:91] neg_lo:[0,1] neg_hi:[0,1]
	v_pk_add_f32 v[18:19], v[18:19], v[90:91]
	v_mov_b32_e32 v15, v16
	v_pk_add_f32 v[90:91], v[92:93], v[82:83] op_sel_hi:[0,1]
	v_mov_b32_e32 v90, v248
	v_pk_mul_f32 v[158:159], v[14:15], s[44:45]
	v_pk_add_f32 v[50:51], v[122:123], v[84:85] neg_lo:[0,1] neg_hi:[0,1]
	v_pk_fma_f32 v[16:17], v[248:249], s[20:21], v[158:159] neg_lo:[1,0,0] neg_hi:[1,0,0]
	v_pk_fma_f32 v[138:139], v[90:91], s[20:21], v[158:159]
	v_pk_add_f32 v[160:161], v[118:119], v[80:81] neg_lo:[0,1] neg_hi:[0,1]
	v_mov_b32_e32 v17, v139
	v_pk_add_f32 v[48:49], v[16:17], v[48:49]
	v_pk_add_f32 v[16:17], v[122:123], v[84:85]
	;; [unrolled: 1-line block ×3, first 2 shown]
	v_mov_b32_e32 v17, v50
	v_mov_b32_e32 v92, v161
	v_pk_mul_f32 v[122:123], v[16:17], s[16:17]
	v_pk_mul_f32 v[78:79], v[192:193], s[34:35] op_sel_hi:[1,0]
	v_pk_fma_f32 v[50:51], v[160:161], s[24:25], v[122:123] op_sel:[1,0,0] neg_lo:[1,0,0] neg_hi:[1,0,0]
	v_pk_fma_f32 v[118:119], v[92:93], s[24:25], v[122:123]
	v_pk_fma_f32 v[80:81], v[188:189], s[0:1], v[78:79] op_sel:[0,0,1] op_sel_hi:[1,0,0]
	v_mov_b32_e32 v51, v119
	v_pk_add_f32 v[48:49], v[50:51], v[48:49]
	v_pk_mul_f32 v[50:51], v[190:191], s[26:27] op_sel_hi:[1,0]
	v_pk_fma_f32 v[78:79], v[188:189], s[0:1], v[78:79] op_sel:[0,0,1] op_sel_hi:[1,0,0] neg_lo:[0,0,1] neg_hi:[0,0,1]
	v_pk_fma_f32 v[76:77], v[184:185], s[14:15], v[50:51] op_sel:[0,0,1] op_sel_hi:[1,0,0]
	v_pk_fma_f32 v[50:51], v[184:185], s[14:15], v[50:51] op_sel:[0,0,1] op_sel_hi:[1,0,0] neg_lo:[0,0,1] neg_hi:[0,0,1]
	v_mov_b32_e32 v82, v76
	v_mov_b32_e32 v83, v51
	v_pk_add_f32 v[82:83], v[0:1], v[82:83]
	v_mov_b32_e32 v84, v80
	v_mov_b32_e32 v85, v79
	v_pk_add_f32 v[82:83], v[84:85], v[82:83]
	v_pk_mul_f32 v[84:85], v[134:135], s[22:23] op_sel_hi:[1,0]
	v_mov_b32_e32 v51, v77
	v_pk_fma_f32 v[86:87], v[186:187], s[18:19], v[84:85] op_sel:[0,0,1] op_sel_hi:[1,0,0]
	v_pk_fma_f32 v[84:85], v[186:187], s[18:19], v[84:85] op_sel:[0,0,1] op_sel_hi:[1,0,0] neg_lo:[0,0,1] neg_hi:[0,0,1]
	v_mov_b32_e32 v134, v86
	v_mov_b32_e32 v135, v85
	v_pk_add_f32 v[82:83], v[134:135], v[82:83]
	v_pk_mul_f32 v[134:135], v[196:197], s[38:39] op_sel_hi:[1,0]
	v_mov_b32_e32 v79, v81
	v_pk_fma_f32 v[136:137], v[128:129], s[2:3], v[134:135] op_sel:[0,0,1] op_sel_hi:[1,0,0]
	v_pk_fma_f32 v[128:129], v[128:129], s[2:3], v[134:135] op_sel:[0,0,1] op_sel_hi:[1,0,0] neg_lo:[0,0,1] neg_hi:[0,0,1]
	v_mov_b32_e32 v134, v136
	v_mov_b32_e32 v135, v129
	v_pk_add_f32 v[82:83], v[134:135], v[82:83]
	v_pk_mul_f32 v[134:135], v[202:203], s[24:25] op_sel_hi:[1,0]
	v_pk_add_f32 v[50:51], v[0:1], v[50:51]
	v_pk_fma_f32 v[144:145], v[194:195], s[16:17], v[134:135] op_sel:[0,0,1] op_sel_hi:[1,0,0]
	v_pk_fma_f32 v[134:135], v[194:195], s[16:17], v[134:135] op_sel:[0,0,1] op_sel_hi:[1,0,0] neg_lo:[0,0,1] neg_hi:[0,0,1]
	v_mov_b32_e32 v172, v144
	v_mov_b32_e32 v173, v135
	v_pk_add_f32 v[50:51], v[78:79], v[50:51]
	v_mov_b32_e32 v85, v87
	v_pk_add_f32 v[82:83], v[172:173], v[82:83]
	v_pk_mul_f32 v[172:173], v[204:205], s[28:29] op_sel_hi:[1,0]
	v_pk_add_f32 v[50:51], v[84:85], v[50:51]
	v_mov_b32_e32 v129, v137
	v_pk_fma_f32 v[184:185], v[198:199], s[8:9], v[172:173] op_sel:[0,0,1] op_sel_hi:[1,0,0]
	v_pk_fma_f32 v[172:173], v[198:199], s[8:9], v[172:173] op_sel:[0,0,1] op_sel_hi:[1,0,0] neg_lo:[0,0,1] neg_hi:[0,0,1]
	v_pk_add_f32 v[50:51], v[128:129], v[50:51]
	v_mov_b32_e32 v135, v145
	v_mov_b32_e32 v186, v184
	;; [unrolled: 1-line block ×3, first 2 shown]
	v_pk_add_f32 v[50:51], v[134:135], v[50:51]
	v_mov_b32_e32 v173, v185
	v_pk_add_f32 v[82:83], v[186:187], v[82:83]
	v_pk_add_f32 v[50:51], v[172:173], v[50:51]
	v_mov_b32_e32 v20, v169
	v_pk_mul_f32 v[134:135], v[8:9], s[46:47]
	ds_write2_b64 v26, v[82:83], v[50:51] offset0:156 offset1:182
	v_pk_fma_f32 v[50:51], v[168:169], s[22:23], v[134:135] op_sel:[1,0,0] neg_lo:[1,0,0] neg_hi:[1,0,0]
	v_pk_fma_f32 v[128:129], v[20:21], s[22:23], v[134:135]
	v_mov_b32_e32 v18, v167
	v_mov_b32_e32 v51, v129
	v_pk_mul_f32 v[186:187], v[4:5], s[14:15]
	v_pk_add_f32 v[48:49], v[50:51], v[48:49]
	v_pk_fma_f32 v[50:51], v[166:167], s[26:27], v[186:187] op_sel:[1,0,0] neg_lo:[1,0,0] neg_hi:[1,0,0]
	v_pk_fma_f32 v[184:185], v[18:19], s[26:27], v[186:187]
	v_mov_b32_e32 v147, v125
	v_mov_b32_e32 v51, v185
	v_pk_add_f32 v[76:77], v[50:51], v[48:49]
	v_pk_mul_f32 v[50:51], v[8:9], s[8:9]
	v_pk_add_f32 v[48:49], v[0:1], v[238:239]
	v_pk_fma_f32 v[124:125], v[168:169], s[28:29], v[50:51] op_sel:[1,0,0] neg_lo:[1,0,0] neg_hi:[1,0,0]
	v_mov_b32_e32 v143, v163
	v_pk_add_f32 v[168:169], v[0:1], v[236:237]
	v_pk_add_f32 v[48:49], v[146:147], v[48:49]
	v_mov_b32_e32 v247, v141
	v_pk_add_f32 v[142:143], v[142:143], v[168:169]
	v_mov_b32_e32 v229, v251
	;; [unrolled: 2-line block ×8, first 2 shown]
	v_pk_add_f32 v[48:49], v[174:175], v[48:49]
	v_pk_add_f32 v[142:143], v[234:235], v[142:143]
	v_mov_b32_e32 v151, v131
	v_mov_b32_e32 v97, v95
	;; [unrolled: 1-line block ×3, first 2 shown]
	ds_write2_b64 v26, v[48:49], v[142:143] offset0:208 offset1:234
	v_pk_add_f32 v[48:49], v[0:1], v[150:151]
	v_pk_add_f32 v[94:95], v[0:1], v[96:97]
	;; [unrolled: 1-line block ×3, first 2 shown]
	v_mov_b32_e32 v29, v27
	v_pk_add_f32 v[0:1], v[28:29], v[0:1]
	v_mov_b32_e32 v33, v31
	v_pk_add_f32 v[0:1], v[32:33], v[0:1]
	;; [unrolled: 2-line block ×5, first 2 shown]
	ds_write_b64 v26, v[0:1] offset:2496
	v_pk_fma_f32 v[0:1], v[88:89], s[30:31], v[10:11] neg_lo:[0,0,1] neg_hi:[0,0,1]
	v_pk_fma_f32 v[10:11], v[46:47], s[10:11], v[132:133] neg_lo:[0,0,1] neg_hi:[0,0,1]
	v_mov_b32_e32 v121, v1
	v_mov_b32_e32 v155, v153
	;; [unrolled: 1-line block ×3, first 2 shown]
	v_pk_add_f32 v[0:1], v[2:3], v[120:121]
	v_mov_b32_e32 v127, v11
	v_pk_fma_f32 v[10:11], v[90:91], s[20:21], v[158:159] neg_lo:[0,0,1] neg_hi:[0,0,1]
	v_pk_add_f32 v[48:49], v[154:155], v[48:49]
	v_mov_b32_e32 v207, v157
	v_pk_add_f32 v[94:95], v[100:101], v[94:95]
	v_mov_b32_e32 v105, v103
	v_pk_add_f32 v[0:1], v[126:127], v[0:1]
	v_mov_b32_e32 v139, v11
	v_pk_fma_f32 v[10:11], v[92:93], s[24:25], v[122:123] neg_lo:[0,0,1] neg_hi:[0,0,1]
	v_pk_add_f32 v[48:49], v[206:207], v[48:49]
	v_mov_b32_e32 v211, v209
	v_pk_add_f32 v[94:95], v[104:105], v[94:95]
	v_mov_b32_e32 v109, v107
	;; [unrolled: 7-line block ×4, first 2 shown]
	v_pk_add_f32 v[0:1], v[128:129], v[0:1]
	v_mov_b32_e32 v185, v11
	v_pk_add_f32 v[48:49], v[218:219], v[48:49]
	v_pk_add_f32 v[94:95], v[116:117], v[94:95]
	v_add_u32_e32 v22, 0x800, v26
	v_pk_add_f32 v[0:1], v[184:185], v[0:1]
	v_accvgpr_read_b32 v154, a90
	v_pk_fma_f32 v[136:137], v[20:21], s[28:29], v[50:51]
	ds_write2_b64 v22, v[48:49], v[94:95] offset0:4 offset1:30
	ds_write2_b64 v154, v[220:221], v[0:1] offset1:26
	v_pk_fma_f32 v[0:1], v[20:21], s[28:29], v[50:51] neg_lo:[0,0,1] neg_hi:[0,0,1]
	v_mov_b32_e32 v125, v137
	v_mov_b32_e32 v137, v1
	v_pk_mul_f32 v[0:1], v[88:89], s[10:11]
	v_pk_mul_f32 v[24:25], v[46:47], s[24:25]
	v_pk_fma_f32 v[10:11], v[6:7], s[2:3], v[0:1]
	v_pk_fma_f32 v[22:23], v[6:7], s[2:3], v[0:1] neg_lo:[1,0,0] neg_hi:[1,0,0]
	v_pk_fma_f32 v[26:27], v[12:13], s[16:17], v[24:25]
	v_mov_b32_e32 v22, v10
	v_pk_fma_f32 v[28:29], v[12:13], s[16:17], v[24:25] neg_lo:[1,0,0] neg_hi:[1,0,0]
	v_pk_fma_f32 v[24:25], v[12:13], s[16:17], v[24:25] neg_lo:[0,0,1] neg_hi:[0,0,1]
	v_pk_add_f32 v[22:23], v[2:3], v[22:23]
	v_mov_b32_e32 v28, v26
	v_mov_b32_e32 v25, v27
	v_pk_mul_f32 v[26:27], v[88:89], s[20:21]
	v_pk_fma_f32 v[0:1], v[6:7], s[2:3], v[0:1] neg_lo:[0,0,1] neg_hi:[0,0,1]
	v_pk_add_f32 v[22:23], v[28:29], v[22:23]
	v_pk_fma_f32 v[28:29], v[6:7], s[44:45], v[26:27]
	v_pk_fma_f32 v[30:31], v[6:7], s[44:45], v[26:27] neg_lo:[1,0,0] neg_hi:[1,0,0]
	v_pk_mul_f32 v[32:33], v[46:47], s[26:27]
	v_pk_mul_f32 v[140:141], v[14:15], s[14:15]
	v_mov_b32_e32 v1, v11
	v_mov_b32_e32 v30, v28
	v_pk_fma_f32 v[34:35], v[12:13], s[14:15], v[32:33]
	v_pk_fma_f32 v[36:37], v[12:13], s[14:15], v[32:33] neg_lo:[1,0,0] neg_hi:[1,0,0]
	v_pk_fma_f32 v[144:145], v[248:249], s[26:27], v[140:141] neg_lo:[1,0,0] neg_hi:[1,0,0]
	v_pk_fma_f32 v[146:147], v[90:91], s[26:27], v[140:141]
	v_pk_mul_f32 v[164:165], v[16:17], s[18:19]
	v_pk_add_f32 v[0:1], v[2:3], v[0:1]
	v_pk_add_f32 v[30:31], v[2:3], v[30:31]
	v_mov_b32_e32 v36, v34
	s_mov_b32 s43, s16
	v_mov_b32_e32 v145, v147
	v_pk_fma_f32 v[160:161], v[160:161], s[36:37], v[164:165] op_sel:[1,0,0] neg_lo:[1,0,0] neg_hi:[1,0,0]
	v_pk_fma_f32 v[162:163], v[92:93], s[36:37], v[164:165]
	v_pk_add_f32 v[0:1], v[24:25], v[0:1]
	v_pk_add_f32 v[30:31], v[36:37], v[30:31]
	v_pk_mul_f32 v[36:37], v[90:91], s[42:43]
	s_mov_b32 s30, s16
	s_mov_b32 s31, s42
	v_mov_b32_e32 v161, v163
	v_pk_mul_f32 v[168:169], v[4:5], s[0:1]
	v_pk_fma_f32 v[10:11], v[90:91], s[26:27], v[140:141] neg_lo:[0,0,1] neg_hi:[0,0,1]
	v_pk_add_f32 v[0:1], v[144:145], v[0:1]
	v_pk_fma_f32 v[38:39], v[14:15], s[30:31], v[36:37]
	v_pk_fma_f32 v[40:41], v[14:15], s[30:31], v[36:37] neg_lo:[1,0,0] neg_hi:[1,0,0]
	v_pk_fma_f32 v[166:167], v[166:167], s[34:35], v[168:169] op_sel:[1,0,0] neg_lo:[1,0,0] neg_hi:[1,0,0]
	v_pk_fma_f32 v[170:171], v[18:19], s[34:35], v[168:169]
	v_mov_b32_e32 v147, v11
	v_pk_add_f32 v[0:1], v[160:161], v[0:1]
	v_mov_b32_e32 v40, v38
	v_mov_b32_e32 v167, v171
	v_pk_add_f32 v[10:11], v[146:147], v[22:23]
	v_pk_fma_f32 v[22:23], v[92:93], s[36:37], v[164:165] neg_lo:[0,0,1] neg_hi:[0,0,1]
	v_pk_add_f32 v[0:1], v[124:125], v[0:1]
	v_pk_add_f32 v[30:31], v[40:41], v[30:31]
	v_pk_mul_f32 v[40:41], v[92:93], s[34:35]
	v_pk_mul_f32 v[50:51], v[88:89], s[24:25]
	v_mov_b32_e32 v163, v23
	v_pk_fma_f32 v[22:23], v[18:19], s[34:35], v[168:169] neg_lo:[0,0,1] neg_hi:[0,0,1]
	v_pk_add_f32 v[94:95], v[166:167], v[0:1]
	v_pk_mul_f32 v[0:1], v[20:21], s[10:11]
	v_pk_fma_f32 v[42:43], v[16:17], s[0:1], v[40:41]
	v_pk_fma_f32 v[44:45], v[16:17], s[0:1], v[40:41] neg_lo:[1,0,0] neg_hi:[1,0,0]
	v_pk_fma_f32 v[96:97], v[6:7], s[16:17], v[50:51]
	v_pk_fma_f32 v[98:99], v[6:7], s[16:17], v[50:51] neg_lo:[1,0,0] neg_hi:[1,0,0]
	v_pk_mul_f32 v[100:101], v[46:47], s[36:37]
	v_mov_b32_e32 v171, v23
	v_pk_fma_f32 v[22:23], v[8:9], s[2:3], v[0:1]
	v_pk_fma_f32 v[24:25], v[8:9], s[2:3], v[0:1] neg_lo:[1,0,0] neg_hi:[1,0,0]
	v_mov_b32_e32 v44, v42
	v_mov_b32_e32 v98, v96
	v_pk_fma_f32 v[102:103], v[12:13], s[18:19], v[100:101]
	v_pk_fma_f32 v[104:105], v[12:13], s[18:19], v[100:101] neg_lo:[1,0,0] neg_hi:[1,0,0]
	v_mov_b32_e32 v24, v22
	v_pk_add_f32 v[30:31], v[44:45], v[30:31]
	v_pk_add_f32 v[98:99], v[2:3], v[98:99]
	v_mov_b32_e32 v104, v102
	v_pk_add_f32 v[24:25], v[24:25], v[30:31]
	v_pk_mul_f32 v[30:31], v[18:19], s[22:23]
	v_pk_add_f32 v[98:99], v[104:105], v[98:99]
	v_pk_mul_f32 v[104:105], v[90:91], s[34:35]
	v_pk_add_f32 v[10:11], v[162:163], v[10:11]
	v_pk_fma_f32 v[44:45], v[4:5], s[46:47], v[30:31]
	v_pk_fma_f32 v[48:49], v[4:5], s[46:47], v[30:31] neg_lo:[1,0,0] neg_hi:[1,0,0]
	v_pk_fma_f32 v[106:107], v[14:15], s[0:1], v[104:105]
	v_pk_fma_f32 v[108:109], v[14:15], s[0:1], v[104:105] neg_lo:[1,0,0] neg_hi:[1,0,0]
	v_pk_add_f32 v[10:11], v[136:137], v[10:11]
	v_mov_b32_e32 v48, v44
	v_mov_b32_e32 v108, v106
	v_pk_mul_f32 v[120:121], v[88:89], s[22:23]
	v_pk_add_f32 v[10:11], v[170:171], v[10:11]
	v_pk_add_f32 v[24:25], v[48:49], v[24:25]
	s_mov_b32 s41, s14
	v_pk_add_f32 v[98:99], v[108:109], v[98:99]
	v_pk_mul_f32 v[108:109], v[92:93], s[20:21]
	v_pk_fma_f32 v[122:123], v[6:7], s[46:47], v[120:121]
	v_pk_fma_f32 v[124:125], v[6:7], s[46:47], v[120:121] neg_lo:[1,0,0] neg_hi:[1,0,0]
	v_pk_mul_f32 v[126:127], v[46:47], s[28:29]
	ds_write2_b64 v154, v[10:11], v[24:25] offset0:52 offset1:78
	v_pk_mul_f32 v[10:11], v[20:21], s[40:41]
	s_mov_b32 s42, s14
	s_mov_b32 s43, s40
	v_pk_fma_f32 v[110:111], v[16:17], s[44:45], v[108:109]
	v_pk_fma_f32 v[112:113], v[16:17], s[44:45], v[108:109] neg_lo:[1,0,0] neg_hi:[1,0,0]
	v_mov_b32_e32 v124, v122
	v_pk_fma_f32 v[128:129], v[12:13], s[8:9], v[126:127]
	v_pk_fma_f32 v[130:131], v[12:13], s[8:9], v[126:127] neg_lo:[1,0,0] neg_hi:[1,0,0]
	v_pk_fma_f32 v[24:25], v[8:9], s[42:43], v[10:11]
	v_pk_fma_f32 v[48:49], v[8:9], s[42:43], v[10:11] neg_lo:[1,0,0] neg_hi:[1,0,0]
	v_mov_b32_e32 v112, v110
	v_pk_add_f32 v[124:125], v[2:3], v[124:125]
	v_mov_b32_e32 v130, v128
	v_mov_b32_e32 v48, v24
	v_pk_add_f32 v[98:99], v[112:113], v[98:99]
	s_mov_b32 s39, s2
	v_pk_add_f32 v[124:125], v[130:131], v[124:125]
	v_pk_mul_f32 v[130:131], v[90:91], s[10:11]
	v_pk_add_f32 v[48:49], v[48:49], v[98:99]
	v_pk_mul_f32 v[98:99], v[18:19], s[38:39]
	s_mov_b32 s20, s2
	s_mov_b32 s21, s38
	v_pk_fma_f32 v[132:133], v[14:15], s[2:3], v[130:131]
	v_pk_fma_f32 v[134:135], v[14:15], s[2:3], v[130:131] neg_lo:[1,0,0] neg_hi:[1,0,0]
	v_pk_fma_f32 v[112:113], v[4:5], s[20:21], v[98:99]
	v_pk_fma_f32 v[114:115], v[4:5], s[20:21], v[98:99] neg_lo:[1,0,0] neg_hi:[1,0,0]
	v_mov_b32_e32 v134, v132
	v_mov_b32_e32 v114, v112
	v_pk_add_f32 v[124:125], v[134:135], v[124:125]
	v_pk_mul_f32 v[134:135], v[92:93], s[40:41]
	v_pk_add_f32 v[48:49], v[114:115], v[48:49]
	v_pk_mul_f32 v[114:115], v[20:21], s[34:35]
	v_pk_fma_f32 v[136:137], v[16:17], s[42:43], v[134:135]
	v_pk_fma_f32 v[138:139], v[16:17], s[42:43], v[134:135] neg_lo:[1,0,0] neg_hi:[1,0,0]
	v_pk_fma_f32 v[116:117], v[8:9], s[0:1], v[114:115]
	v_pk_fma_f32 v[118:119], v[8:9], s[0:1], v[114:115] neg_lo:[1,0,0] neg_hi:[1,0,0]
	v_mov_b32_e32 v138, v136
	v_mov_b32_e32 v118, v116
	v_pk_add_f32 v[124:125], v[138:139], v[124:125]
	v_pk_mul_f32 v[20:21], v[20:21], s[24:25]
	v_pk_add_f32 v[118:119], v[118:119], v[124:125]
	v_pk_mul_f32 v[124:125], v[18:19], s[24:25]
	v_pk_mul_f32 v[88:89], v[88:89], s[26:27]
	v_pk_fma_f32 v[138:139], v[4:5], s[16:17], v[124:125]
	v_pk_fma_f32 v[140:141], v[4:5], s[16:17], v[124:125] neg_lo:[1,0,0] neg_hi:[1,0,0]
	v_pk_fma_f32 v[142:143], v[6:7], s[14:15], v[88:89] neg_lo:[1,0,0] neg_hi:[1,0,0]
	v_mov_b32_e32 v140, v138
	v_pk_add_f32 v[118:119], v[140:141], v[118:119]
	ds_write2_b64 v154, v[48:49], v[118:119] offset0:104 offset1:130
	v_pk_fma_f32 v[48:49], v[8:9], s[16:17], v[20:21]
	v_pk_fma_f32 v[118:119], v[8:9], s[16:17], v[20:21] neg_lo:[1,0,0] neg_hi:[1,0,0]
	v_pk_fma_f32 v[140:141], v[6:7], s[14:15], v[88:89]
	v_pk_mul_f32 v[46:47], v[46:47], s[34:35]
	v_pk_fma_f32 v[20:21], v[8:9], s[16:17], v[20:21] neg_lo:[0,0,1] neg_hi:[0,0,1]
	v_mov_b32_e32 v118, v48
	v_mov_b32_e32 v142, v140
	v_pk_fma_f32 v[144:145], v[12:13], s[0:1], v[46:47]
	v_pk_fma_f32 v[146:147], v[12:13], s[0:1], v[46:47] neg_lo:[1,0,0] neg_hi:[1,0,0]
	v_mov_b32_e32 v21, v49
	v_pk_fma_f32 v[48:49], v[6:7], s[14:15], v[88:89] neg_lo:[0,0,1] neg_hi:[0,0,1]
	v_pk_add_f32 v[142:143], v[2:3], v[142:143]
	v_mov_b32_e32 v146, v144
	v_pk_mul_f32 v[90:91], v[90:91], s[22:23]
	v_mov_b32_e32 v49, v141
	v_pk_fma_f32 v[46:47], v[12:13], s[0:1], v[46:47] neg_lo:[0,0,1] neg_hi:[0,0,1]
	v_pk_add_f32 v[142:143], v[146:147], v[142:143]
	v_pk_fma_f32 v[146:147], v[14:15], s[46:47], v[90:91]
	v_pk_fma_f32 v[150:151], v[14:15], s[46:47], v[90:91] neg_lo:[1,0,0] neg_hi:[1,0,0]
	v_pk_add_f32 v[48:49], v[2:3], v[48:49]
	v_mov_b32_e32 v47, v145
	v_mov_b32_e32 v150, v146
	v_pk_mul_f32 v[92:93], v[92:93], s[38:39]
	v_pk_add_f32 v[46:47], v[46:47], v[48:49]
	v_pk_fma_f32 v[48:49], v[14:15], s[46:47], v[90:91] neg_lo:[0,0,1] neg_hi:[0,0,1]
	v_pk_add_f32 v[142:143], v[150:151], v[142:143]
	v_pk_fma_f32 v[150:151], v[16:17], s[20:21], v[92:93]
	v_pk_fma_f32 v[152:153], v[16:17], s[20:21], v[92:93] neg_lo:[1,0,0] neg_hi:[1,0,0]
	v_mov_b32_e32 v49, v147
	v_mov_b32_e32 v152, v150
	v_pk_add_f32 v[46:47], v[48:49], v[46:47]
	v_pk_fma_f32 v[48:49], v[16:17], s[20:21], v[92:93] neg_lo:[0,0,1] neg_hi:[0,0,1]
	v_pk_add_f32 v[142:143], v[152:153], v[142:143]
	v_pk_mul_f32 v[18:19], v[18:19], s[28:29]
	v_mov_b32_e32 v49, v151
	v_pk_add_f32 v[118:119], v[118:119], v[142:143]
	v_pk_fma_f32 v[142:143], v[4:5], s[8:9], v[18:19]
	v_pk_fma_f32 v[152:153], v[4:5], s[8:9], v[18:19] neg_lo:[1,0,0] neg_hi:[1,0,0]
	v_pk_add_f32 v[46:47], v[48:49], v[46:47]
	v_pk_fma_f32 v[18:19], v[4:5], s[8:9], v[18:19] neg_lo:[0,0,1] neg_hi:[0,0,1]
	v_pk_add_f32 v[20:21], v[20:21], v[46:47]
	v_mov_b32_e32 v19, v143
	v_pk_add_f32 v[18:19], v[18:19], v[20:21]
	v_pk_fma_f32 v[20:21], v[6:7], s[46:47], v[120:121] neg_lo:[0,0,1] neg_hi:[0,0,1]
	v_pk_fma_f32 v[46:47], v[12:13], s[8:9], v[126:127] neg_lo:[0,0,1] neg_hi:[0,0,1]
	v_mov_b32_e32 v21, v123
	v_pk_add_f32 v[20:21], v[2:3], v[20:21]
	v_mov_b32_e32 v47, v129
	v_pk_add_f32 v[20:21], v[46:47], v[20:21]
	v_pk_fma_f32 v[46:47], v[14:15], s[2:3], v[130:131] neg_lo:[0,0,1] neg_hi:[0,0,1]
	v_mov_b32_e32 v152, v142
	v_mov_b32_e32 v47, v133
	v_pk_add_f32 v[118:119], v[152:153], v[118:119]
	v_pk_add_f32 v[20:21], v[46:47], v[20:21]
	v_pk_fma_f32 v[46:47], v[16:17], s[42:43], v[134:135] neg_lo:[0,0,1] neg_hi:[0,0,1]
	ds_write2_b64 v154, v[118:119], v[18:19] offset0:156 offset1:182
	v_pk_fma_f32 v[18:19], v[8:9], s[0:1], v[114:115] neg_lo:[0,0,1] neg_hi:[0,0,1]
	v_mov_b32_e32 v47, v137
	v_mov_b32_e32 v19, v117
	v_pk_add_f32 v[20:21], v[46:47], v[20:21]
	v_pk_fma_f32 v[10:11], v[8:9], s[42:43], v[10:11] neg_lo:[0,0,1] neg_hi:[0,0,1]
	v_pk_add_f32 v[18:19], v[18:19], v[20:21]
	v_pk_fma_f32 v[20:21], v[4:5], s[16:17], v[124:125] neg_lo:[0,0,1] neg_hi:[0,0,1]
	v_mov_b32_e32 v11, v25
	v_mov_b32_e32 v21, v139
	v_pk_add_f32 v[18:19], v[20:21], v[18:19]
	v_pk_fma_f32 v[20:21], v[6:7], s[16:17], v[50:51] neg_lo:[0,0,1] neg_hi:[0,0,1]
	v_pk_fma_f32 v[6:7], v[6:7], s[44:45], v[26:27] neg_lo:[0,0,1] neg_hi:[0,0,1]
	v_mov_b32_e32 v21, v97
	v_mov_b32_e32 v7, v29
	v_pk_add_f32 v[20:21], v[2:3], v[20:21]
	v_pk_fma_f32 v[24:25], v[12:13], s[18:19], v[100:101] neg_lo:[0,0,1] neg_hi:[0,0,1]
	v_pk_add_f32 v[2:3], v[2:3], v[6:7]
	v_pk_fma_f32 v[6:7], v[12:13], s[14:15], v[32:33] neg_lo:[0,0,1] neg_hi:[0,0,1]
	v_mov_b32_e32 v25, v103
	v_mov_b32_e32 v7, v35
	v_pk_add_f32 v[20:21], v[24:25], v[20:21]
	v_pk_fma_f32 v[24:25], v[14:15], s[0:1], v[104:105] neg_lo:[0,0,1] neg_hi:[0,0,1]
	v_pk_add_f32 v[2:3], v[6:7], v[2:3]
	;; [unrolled: 6-line block ×3, first 2 shown]
	v_pk_fma_f32 v[6:7], v[16:17], s[0:1], v[40:41] neg_lo:[0,0,1] neg_hi:[0,0,1]
	v_mov_b32_e32 v25, v111
	v_pk_fma_f32 v[0:1], v[8:9], s[2:3], v[0:1] neg_lo:[0,0,1] neg_hi:[0,0,1]
	v_mov_b32_e32 v7, v43
	v_pk_add_f32 v[20:21], v[24:25], v[20:21]
	v_mov_b32_e32 v1, v23
	v_pk_add_f32 v[2:3], v[6:7], v[2:3]
	v_pk_add_f32 v[10:11], v[10:11], v[20:21]
	v_pk_fma_f32 v[20:21], v[4:5], s[20:21], v[98:99] neg_lo:[0,0,1] neg_hi:[0,0,1]
	v_pk_add_f32 v[0:1], v[0:1], v[2:3]
	v_pk_fma_f32 v[2:3], v[4:5], s[46:47], v[30:31] neg_lo:[0,0,1] neg_hi:[0,0,1]
	v_mov_b32_e32 v21, v113
	v_mov_b32_e32 v3, v45
	v_pk_add_f32 v[10:11], v[20:21], v[10:11]
	v_pk_add_f32 v[0:1], v[2:3], v[0:1]
	v_add_u32_e32 v2, 0x800, v154
	ds_write2_b64 v154, v[18:19], v[10:11] offset0:208 offset1:234
	ds_write2_b64 v2, v[0:1], v[94:95] offset0:4 offset1:30
	ds_write_b64 v154, v[76:77] offset:2496
	v_accvgpr_read_b32 v0, a107
	v_mov_b32_e32 v253, v61
	v_mov_b32_e32 v255, v65
	;; [unrolled: 1-line block ×4, first 2 shown]
	s_waitcnt lgkmcnt(0)
	; wave barrier
	s_waitcnt lgkmcnt(0)
	ds_read2_b64 v[32:35], v148 offset1:52
	ds_read2_b64 v[44:47], v255 offset0:82 offset1:134
	ds_read2_b64 v[40:43], v149 offset0:164 offset1:216
	;; [unrolled: 1-line block ×11, first 2 shown]
	v_accvgpr_read_b32 v173, a99
	v_accvgpr_read_b32 v191, a105
	;; [unrolled: 1-line block ×12, first 2 shown]
	v_mov_b32_e32 v57, v56
	v_accvgpr_read_b32 v196, a110
	v_accvgpr_read_b32 v197, a110
	v_mov_b32_e32 v59, v58
	v_accvgpr_read_b32 v194, a108
	v_accvgpr_read_b32 v195, a108
	v_mov_b32_e32 v86, v172
	v_mov_b32_e32 v87, v172
	;; [unrolled: 1-line block ×3, first 2 shown]
	v_accvgpr_read_b32 v198, a114
	v_accvgpr_read_b32 v199, a114
	;; [unrolled: 1-line block ×4, first 2 shown]
	v_mov_b32_e32 v84, v190
	v_mov_b32_e32 v85, v190
	;; [unrolled: 1-line block ×4, first 2 shown]
	v_accvgpr_read_b32 v204, a118
	v_accvgpr_read_b32 v205, a118
	v_mov_b32_e32 v63, v62
	v_accvgpr_read_b32 v202, a116
	v_accvgpr_read_b32 v203, a116
	v_mov_b32_e32 v82, v188
	v_mov_b32_e32 v83, v188
	;; [unrolled: 1-line block ×3, first 2 shown]
	v_accvgpr_read_b32 v240, a124
	v_accvgpr_read_b32 v241, a124
	;; [unrolled: 1-line block ×4, first 2 shown]
	v_mov_b32_e32 v80, v200
	v_mov_b32_e32 v81, v200
	;; [unrolled: 1-line block ×4, first 2 shown]
	v_accvgpr_read_b32 v246, a148
	v_accvgpr_read_b32 v247, a148
	;; [unrolled: 1-line block ×4, first 2 shown]
	v_mov_b32_e32 v78, v182
	v_mov_b32_e32 v79, v182
	;; [unrolled: 1-line block ×4, first 2 shown]
	v_accvgpr_read_b32 v244, a146
	v_accvgpr_read_b32 v245, a146
	v_mov_b32_e32 v55, v54
	v_accvgpr_read_b32 v120, a144
	v_accvgpr_read_b32 v121, a144
	v_mov_b32_e32 v88, v122
	v_mov_b32_e32 v89, v122
	;; [unrolled: 1-line block ×3, first 2 shown]
	s_and_saveexec_b64 s[0:1], vcc
	s_cbranch_execz .LBB0_7
; %bb.6:
	ds_read_b64 v[94:95], v148 offset:2496
	ds_read_b64 v[76:77], v148 offset:5200
	;; [unrolled: 1-line block ×4, first 2 shown]
.LBB0_7:
	s_or_b64 exec, exec, s[0:1]
	s_waitcnt lgkmcnt(10)
	v_pk_mul_f32 v[48:49], v[196:197], v[44:45]
	s_waitcnt lgkmcnt(9)
	v_pk_mul_f32 v[50:51], v[194:195], v[40:41]
	v_pk_fma_f32 v[124:125], v[56:57], v[44:45], v[48:49] op_sel:[0,0,1] op_sel_hi:[1,1,0]
	v_pk_fma_f32 v[44:45], v[56:57], v[44:45], v[48:49] op_sel:[0,0,1] op_sel_hi:[1,1,0] neg_lo:[0,0,1] neg_hi:[0,0,1]
	s_waitcnt lgkmcnt(8)
	v_pk_mul_f32 v[90:91], v[172:173], v[36:37]
	v_mov_b32_e32 v125, v45
	v_pk_fma_f32 v[44:45], v[58:59], v[40:41], v[50:51] op_sel:[0,0,1] op_sel_hi:[1,1,0]
	v_pk_fma_f32 v[40:41], v[58:59], v[40:41], v[50:51] op_sel:[0,0,1] op_sel_hi:[1,1,0] neg_lo:[0,0,1] neg_hi:[0,0,1]
	v_pk_mul_f32 v[92:93], v[198:199], v[46:47]
	v_mov_b32_e32 v45, v41
	v_pk_fma_f32 v[40:41], v[86:87], v[36:37], v[90:91] op_sel:[0,0,1] op_sel_hi:[1,1,0]
	v_pk_fma_f32 v[36:37], v[86:87], v[36:37], v[90:91] op_sel:[0,0,1] op_sel_hi:[1,1,0] neg_lo:[0,0,1] neg_hi:[0,0,1]
	v_pk_mul_f32 v[96:97], v[192:193], v[42:43]
	v_mov_b32_e32 v41, v37
	v_pk_add_f32 v[36:37], v[32:33], v[44:45] neg_lo:[0,1] neg_hi:[0,1]
	v_pk_add_f32 v[40:41], v[124:125], v[40:41] neg_lo:[0,1] neg_hi:[0,1]
	v_pk_fma_f32 v[32:33], v[32:33], 2.0, v[36:37] op_sel_hi:[1,0,1] neg_lo:[0,0,1] neg_hi:[0,0,1]
	v_pk_fma_f32 v[44:45], v[124:125], 2.0, v[40:41] op_sel_hi:[1,0,1] neg_lo:[0,0,1] neg_hi:[0,0,1]
	v_pk_add_f32 v[48:49], v[36:37], v[40:41] op_sel:[0,1] op_sel_hi:[1,0]
	v_pk_add_f32 v[40:41], v[36:37], v[40:41] op_sel:[0,1] op_sel_hi:[1,0] neg_lo:[0,1] neg_hi:[0,1]
	v_pk_add_f32 v[44:45], v[32:33], v[44:45] neg_lo:[0,1] neg_hi:[0,1]
	v_mov_b32_e32 v49, v41
	v_pk_fma_f32 v[36:37], v[36:37], 2.0, v[48:49] op_sel_hi:[1,0,1] neg_lo:[0,0,1] neg_hi:[0,0,1]
	ds_write_b64 v148, v[36:37] offset:2704
	ds_write_b64 v148, v[44:45] offset:5408
	;; [unrolled: 1-line block ×3, first 2 shown]
	v_pk_fma_f32 v[36:37], v[72:73], v[46:47], v[92:93] op_sel:[0,0,1] op_sel_hi:[1,1,0]
	v_pk_fma_f32 v[40:41], v[72:73], v[46:47], v[92:93] op_sel:[0,0,1] op_sel_hi:[1,1,0] neg_lo:[0,0,1] neg_hi:[0,0,1]
	v_pk_mul_f32 v[98:99], v[190:191], v[38:39]
	v_mov_b32_e32 v37, v41
	v_pk_fma_f32 v[40:41], v[74:75], v[42:43], v[96:97] op_sel:[0,0,1] op_sel_hi:[1,1,0]
	v_pk_fma_f32 v[42:43], v[74:75], v[42:43], v[96:97] op_sel:[0,0,1] op_sel_hi:[1,1,0] neg_lo:[0,0,1] neg_hi:[0,0,1]
	s_waitcnt lgkmcnt(9)
	v_pk_mul_f32 v[100:101], v[204:205], v[28:29]
	v_mov_b32_e32 v41, v43
	v_pk_fma_f32 v[42:43], v[84:85], v[38:39], v[98:99] op_sel:[0,0,1] op_sel_hi:[1,1,0]
	v_pk_fma_f32 v[38:39], v[84:85], v[38:39], v[98:99] op_sel:[0,0,1] op_sel_hi:[1,1,0] neg_lo:[0,0,1] neg_hi:[0,0,1]
	v_pk_fma_f32 v[32:33], v[32:33], 2.0, v[44:45] op_sel_hi:[1,0,1] neg_lo:[0,0,1] neg_hi:[0,0,1]
	v_mov_b32_e32 v43, v39
	v_pk_add_f32 v[38:39], v[34:35], v[40:41] neg_lo:[0,1] neg_hi:[0,1]
	v_pk_add_f32 v[40:41], v[36:37], v[42:43] neg_lo:[0,1] neg_hi:[0,1]
	v_pk_fma_f32 v[34:35], v[34:35], 2.0, v[38:39] op_sel_hi:[1,0,1] neg_lo:[0,0,1] neg_hi:[0,0,1]
	v_pk_fma_f32 v[36:37], v[36:37], 2.0, v[40:41] op_sel_hi:[1,0,1] neg_lo:[0,0,1] neg_hi:[0,0,1]
	s_waitcnt lgkmcnt(8)
	v_pk_mul_f32 v[102:103], v[202:203], v[24:25]
	v_pk_add_f32 v[36:37], v[34:35], v[36:37] neg_lo:[0,1] neg_hi:[0,1]
	s_waitcnt lgkmcnt(7)
	v_pk_mul_f32 v[104:105], v[188:189], v[20:21]
	v_pk_fma_f32 v[34:35], v[34:35], 2.0, v[36:37] op_sel_hi:[1,0,1] neg_lo:[0,0,1] neg_hi:[0,0,1]
	ds_write2_b64 v148, v[32:33], v[34:35] offset1:52
	ds_write_b64 v148, v[36:37] offset:5824
	v_pk_fma_f32 v[36:37], v[60:61], v[28:29], v[100:101] op_sel:[0,0,1] op_sel_hi:[1,1,0]
	v_pk_fma_f32 v[28:29], v[60:61], v[28:29], v[100:101] op_sel:[0,0,1] op_sel_hi:[1,1,0] neg_lo:[0,0,1] neg_hi:[0,0,1]
	v_pk_add_f32 v[32:33], v[38:39], v[40:41] op_sel:[0,1] op_sel_hi:[1,0]
	v_mov_b32_e32 v37, v29
	v_pk_fma_f32 v[28:29], v[62:63], v[24:25], v[102:103] op_sel:[0,0,1] op_sel_hi:[1,1,0]
	v_pk_fma_f32 v[24:25], v[62:63], v[24:25], v[102:103] op_sel:[0,0,1] op_sel_hi:[1,1,0] neg_lo:[0,0,1] neg_hi:[0,0,1]
	v_pk_add_f32 v[34:35], v[38:39], v[40:41] op_sel:[0,1] op_sel_hi:[1,0] neg_lo:[0,1] neg_hi:[0,1]
	v_mov_b32_e32 v29, v25
	v_pk_fma_f32 v[24:25], v[82:83], v[20:21], v[104:105] op_sel:[0,0,1] op_sel_hi:[1,1,0]
	v_pk_fma_f32 v[20:21], v[82:83], v[20:21], v[104:105] op_sel:[0,0,1] op_sel_hi:[1,1,0] neg_lo:[0,0,1] neg_hi:[0,0,1]
	v_mov_b32_e32 v33, v35
	v_mov_b32_e32 v25, v21
	v_pk_add_f32 v[20:21], v[16:17], v[28:29] neg_lo:[0,1] neg_hi:[0,1]
	v_pk_add_f32 v[24:25], v[36:37], v[24:25] neg_lo:[0,1] neg_hi:[0,1]
	v_pk_fma_f32 v[16:17], v[16:17], 2.0, v[20:21] op_sel_hi:[1,0,1] neg_lo:[0,0,1] neg_hi:[0,0,1]
	v_pk_fma_f32 v[28:29], v[36:37], 2.0, v[24:25] op_sel_hi:[1,0,1] neg_lo:[0,0,1] neg_hi:[0,0,1]
	;; [unrolled: 1-line block ×3, first 2 shown]
	v_pk_add_f32 v[28:29], v[16:17], v[28:29] neg_lo:[0,1] neg_hi:[0,1]
	v_pk_add_f32 v[38:39], v[20:21], v[24:25] op_sel:[0,1] op_sel_hi:[1,0]
	v_pk_fma_f32 v[36:37], v[16:17], 2.0, v[28:29] op_sel_hi:[1,0,1] neg_lo:[0,0,1] neg_hi:[0,0,1]
	v_pk_add_f32 v[16:17], v[20:21], v[24:25] op_sel:[0,1] op_sel_hi:[1,0] neg_lo:[0,1] neg_hi:[0,1]
	v_pk_mul_f32 v[106:107], v[240:241], v[30:31]
	v_mov_b32_e32 v39, v17
	v_pk_fma_f32 v[20:21], v[20:21], 2.0, v[38:39] op_sel_hi:[1,0,1] neg_lo:[0,0,1] neg_hi:[0,0,1]
	v_add_u32_e32 v17, 0x800, v148
	v_pk_mul_f32 v[108:109], v[238:239], v[26:27]
	ds_write2_b64 v17, v[34:35], v[20:21] offset0:134 offset1:186
	v_pk_fma_f32 v[20:21], v[68:69], v[30:31], v[106:107] op_sel:[0,0,1] op_sel_hi:[1,1,0]
	v_pk_fma_f32 v[24:25], v[68:69], v[30:31], v[106:107] op_sel:[0,0,1] op_sel_hi:[1,1,0] neg_lo:[0,0,1] neg_hi:[0,0,1]
	v_pk_mul_f32 v[110:111], v[200:201], v[22:23]
	v_mov_b32_e32 v21, v25
	v_pk_fma_f32 v[24:25], v[70:71], v[26:27], v[108:109] op_sel:[0,0,1] op_sel_hi:[1,1,0]
	v_pk_fma_f32 v[26:27], v[70:71], v[26:27], v[108:109] op_sel:[0,0,1] op_sel_hi:[1,1,0] neg_lo:[0,0,1] neg_hi:[0,0,1]
	v_add_u32_e32 v16, 0x2000, v148
	v_mov_b32_e32 v25, v27
	v_pk_fma_f32 v[26:27], v[80:81], v[22:23], v[110:111] op_sel:[0,0,1] op_sel_hi:[1,1,0]
	v_pk_fma_f32 v[22:23], v[80:81], v[22:23], v[110:111] op_sel:[0,0,1] op_sel_hi:[1,1,0] neg_lo:[0,0,1] neg_hi:[0,0,1]
	ds_write2_b64 v16, v[32:33], v[38:39] offset0:42 offset1:94
	v_mov_b32_e32 v27, v23
	v_pk_add_f32 v[22:23], v[18:19], v[24:25] neg_lo:[0,1] neg_hi:[0,1]
	v_pk_add_f32 v[24:25], v[20:21], v[26:27] neg_lo:[0,1] neg_hi:[0,1]
	v_pk_fma_f32 v[18:19], v[18:19], 2.0, v[22:23] op_sel_hi:[1,0,1] neg_lo:[0,0,1] neg_hi:[0,0,1]
	v_pk_fma_f32 v[20:21], v[20:21], 2.0, v[24:25] op_sel_hi:[1,0,1] neg_lo:[0,0,1] neg_hi:[0,0,1]
	s_waitcnt lgkmcnt(9)
	v_pk_mul_f32 v[112:113], v[246:247], v[12:13]
	v_pk_add_f32 v[20:21], v[18:19], v[20:21] neg_lo:[0,1] neg_hi:[0,1]
	v_pk_add_f32 v[26:27], v[22:23], v[24:25] op_sel:[0,1] op_sel_hi:[1,0]
	v_pk_fma_f32 v[18:19], v[18:19], 2.0, v[20:21] op_sel_hi:[1,0,1] neg_lo:[0,0,1] neg_hi:[0,0,1]
	ds_write2_b64 v148, v[36:37], v[18:19] offset0:104 offset1:156
	v_pk_add_f32 v[18:19], v[22:23], v[24:25] op_sel:[0,1] op_sel_hi:[1,0] neg_lo:[0,1] neg_hi:[0,1]
	s_waitcnt lgkmcnt(9)
	v_pk_mul_f32 v[114:115], v[242:243], v[8:9]
	v_add_u32_e32 v18, 0x1800, v148
	v_mov_b32_e32 v27, v19
	ds_write2_b64 v18, v[28:29], v[20:21] offset0:12 offset1:64
	ds_write_b64 v148, v[26:27] offset:9360
	v_pk_fma_f32 v[20:21], v[64:65], v[12:13], v[112:113] op_sel:[0,0,1] op_sel_hi:[1,1,0]
	v_pk_fma_f32 v[12:13], v[64:65], v[12:13], v[112:113] op_sel:[0,0,1] op_sel_hi:[1,1,0] neg_lo:[0,0,1] neg_hi:[0,0,1]
	s_waitcnt lgkmcnt(10)
	v_pk_mul_f32 v[116:117], v[182:183], v[4:5]
	v_mov_b32_e32 v21, v13
	v_pk_fma_f32 v[12:13], v[66:67], v[8:9], v[114:115] op_sel:[0,0,1] op_sel_hi:[1,1,0]
	v_pk_fma_f32 v[8:9], v[66:67], v[8:9], v[114:115] op_sel:[0,0,1] op_sel_hi:[1,1,0] neg_lo:[0,0,1] neg_hi:[0,0,1]
	v_pk_mul_f32 v[118:119], v[244:245], v[14:15]
	v_mov_b32_e32 v13, v9
	v_pk_fma_f32 v[8:9], v[78:79], v[4:5], v[116:117] op_sel:[0,0,1] op_sel_hi:[1,1,0]
	v_pk_fma_f32 v[4:5], v[78:79], v[4:5], v[116:117] op_sel:[0,0,1] op_sel_hi:[1,1,0] neg_lo:[0,0,1] neg_hi:[0,0,1]
	v_pk_fma_f32 v[22:23], v[22:23], 2.0, v[26:27] op_sel_hi:[1,0,1] neg_lo:[0,0,1] neg_hi:[0,0,1]
	v_mov_b32_e32 v9, v5
	v_pk_add_f32 v[4:5], v[0:1], v[12:13] neg_lo:[0,1] neg_hi:[0,1]
	v_pk_add_f32 v[8:9], v[20:21], v[8:9] neg_lo:[0,1] neg_hi:[0,1]
	v_pk_fma_f32 v[0:1], v[0:1], 2.0, v[4:5] op_sel_hi:[1,0,1] neg_lo:[0,0,1] neg_hi:[0,0,1]
	v_pk_fma_f32 v[12:13], v[20:21], 2.0, v[8:9] op_sel_hi:[1,0,1] neg_lo:[0,0,1] neg_hi:[0,0,1]
	v_pk_add_f32 v[20:21], v[4:5], v[8:9] op_sel:[0,1] op_sel_hi:[1,0]
	v_pk_add_f32 v[8:9], v[4:5], v[8:9] op_sel:[0,1] op_sel_hi:[1,0] neg_lo:[0,1] neg_hi:[0,1]
	v_pk_mul_f32 v[120:121], v[120:121], v[10:11]
	v_mov_b32_e32 v21, v9
	v_pk_fma_f32 v[4:5], v[4:5], 2.0, v[20:21] op_sel_hi:[1,0,1] neg_lo:[0,0,1] neg_hi:[0,0,1]
	v_add_u32_e32 v8, 0xc00, v148
	ds_write2_b64 v8, v[22:23], v[4:5] offset0:110 offset1:162
	v_pk_fma_f32 v[4:5], v[52:53], v[14:15], v[118:119] op_sel:[0,0,1] op_sel_hi:[1,1,0]
	v_pk_fma_f32 v[8:9], v[52:53], v[14:15], v[118:119] op_sel:[0,0,1] op_sel_hi:[1,1,0] neg_lo:[0,0,1] neg_hi:[0,0,1]
	v_pk_mul_f32 v[122:123], v[122:123], v[6:7]
	v_mov_b32_e32 v5, v9
	v_pk_fma_f32 v[8:9], v[54:55], v[10:11], v[120:121] op_sel:[0,0,1] op_sel_hi:[1,1,0]
	v_pk_fma_f32 v[10:11], v[54:55], v[10:11], v[120:121] op_sel:[0,0,1] op_sel_hi:[1,1,0] neg_lo:[0,0,1] neg_hi:[0,0,1]
	v_pk_add_f32 v[12:13], v[0:1], v[12:13] neg_lo:[0,1] neg_hi:[0,1]
	v_mov_b32_e32 v9, v11
	v_pk_fma_f32 v[10:11], v[88:89], v[6:7], v[122:123] op_sel:[0,0,1] op_sel_hi:[1,1,0]
	v_pk_fma_f32 v[6:7], v[88:89], v[6:7], v[122:123] op_sel:[0,0,1] op_sel_hi:[1,1,0] neg_lo:[0,0,1] neg_hi:[0,0,1]
	v_pk_fma_f32 v[0:1], v[0:1], 2.0, v[12:13] op_sel_hi:[1,0,1] neg_lo:[0,0,1] neg_hi:[0,0,1]
	v_mov_b32_e32 v11, v7
	v_pk_add_f32 v[6:7], v[2:3], v[8:9] neg_lo:[0,1] neg_hi:[0,1]
	v_pk_add_f32 v[8:9], v[4:5], v[10:11] neg_lo:[0,1] neg_hi:[0,1]
	v_pk_fma_f32 v[2:3], v[2:3], 2.0, v[6:7] op_sel_hi:[1,0,1] neg_lo:[0,0,1] neg_hi:[0,0,1]
	v_pk_fma_f32 v[4:5], v[4:5], 2.0, v[8:9] op_sel_hi:[1,0,1] neg_lo:[0,0,1] neg_hi:[0,0,1]
	s_nop 0
	v_pk_add_f32 v[10:11], v[2:3], v[4:5] neg_lo:[0,1] neg_hi:[0,1]
	v_add_u32_e32 v4, 0x400, v148
	v_pk_fma_f32 v[2:3], v[2:3], 2.0, v[10:11] op_sel_hi:[1,0,1] neg_lo:[0,0,1] neg_hi:[0,0,1]
	ds_write2_b64 v4, v[0:1], v[2:3] offset0:80 offset1:132
	v_pk_add_f32 v[0:1], v[6:7], v[8:9] op_sel:[0,1] op_sel_hi:[1,0]
	v_pk_add_f32 v[2:3], v[6:7], v[8:9] op_sel:[0,1] op_sel_hi:[1,0] neg_lo:[0,1] neg_hi:[0,1]
	s_nop 0
	v_mov_b32_e32 v1, v3
	v_pk_fma_f32 v[2:3], v[6:7], 2.0, v[0:1] op_sel_hi:[1,0,1] neg_lo:[0,0,1] neg_hi:[0,0,1]
	ds_write_b64 v148, v[2:3] offset:4784
	ds_write2_b64 v18, v[12:13], v[10:11] offset0:116 offset1:168
	ds_write2_b64 v16, v[20:21], v[0:1] offset0:198 offset1:250
	s_and_saveexec_b64 s[0:1], vcc
	s_cbranch_execz .LBB0_9
; %bb.8:
	v_accvgpr_read_b32 v10, a92
	v_accvgpr_read_b32 v22, a112
	;; [unrolled: 1-line block ×5, first 2 shown]
	v_pk_mul_f32 v[0:1], v[12:13], v[22:23] op_sel:[0,1]
	v_accvgpr_read_b32 v20, a100
	v_accvgpr_read_b32 v11, a93
	;; [unrolled: 1-line block ×4, first 2 shown]
	v_pk_fma_f32 v[8:9], v[12:13], v[22:23], v[0:1] op_sel:[0,0,1] op_sel_hi:[1,1,0]
	v_pk_fma_f32 v[0:1], v[12:13], v[22:23], v[0:1] op_sel:[0,0,1] op_sel_hi:[1,0,0] neg_lo:[1,0,0] neg_hi:[1,0,0]
	v_pk_mul_f32 v[2:3], v[10:11], v[76:77] op_sel:[0,1]
	v_mov_b32_e32 v6, v21
	v_accvgpr_read_b32 v15, a97
	v_mov_b32_e32 v9, v1
	v_pk_mul_f32 v[6:7], v[14:15], v[6:7] op_sel_hi:[1,0]
	v_pk_add_f32 v[0:1], v[94:95], v[8:9] neg_lo:[0,1] neg_hi:[0,1]
	v_pk_fma_f32 v[8:9], v[10:11], v[76:77], v[2:3] op_sel:[0,0,1] op_sel_hi:[1,1,0]
	v_pk_fma_f32 v[2:3], v[10:11], v[76:77], v[2:3] op_sel:[0,0,1] op_sel_hi:[1,0,0] neg_lo:[1,0,0] neg_hi:[1,0,0]
	s_nop 0
	v_mov_b32_e32 v9, v3
	v_pk_fma_f32 v[2:3], v[14:15], v[20:21], v[6:7] op_sel:[0,0,1] op_sel_hi:[1,1,0]
	v_pk_fma_f32 v[6:7], v[14:15], v[20:21], v[6:7] op_sel:[0,0,1] op_sel_hi:[1,0,0] neg_lo:[1,0,0] neg_hi:[1,0,0]
	s_nop 0
	v_mov_b32_e32 v3, v7
	v_pk_add_f32 v[2:3], v[8:9], v[2:3] neg_lo:[0,1] neg_hi:[0,1]
	v_pk_fma_f32 v[6:7], v[94:95], 2.0, v[0:1] op_sel_hi:[1,0,1] neg_lo:[0,0,1] neg_hi:[0,0,1]
	v_pk_fma_f32 v[8:9], v[8:9], 2.0, v[2:3] op_sel_hi:[1,0,1] neg_lo:[0,0,1] neg_hi:[0,0,1]
	s_nop 0
	v_pk_add_f32 v[8:9], v[6:7], v[8:9] neg_lo:[0,1] neg_hi:[0,1]
	s_nop 0
	v_pk_fma_f32 v[6:7], v[6:7], 2.0, v[8:9] op_sel_hi:[1,0,1] neg_lo:[0,0,1] neg_hi:[0,0,1]
	ds_write_b64 v148, v[6:7] offset:2496
	v_pk_add_f32 v[6:7], v[0:1], v[2:3] op_sel:[0,1] op_sel_hi:[1,0]
	v_pk_add_f32 v[2:3], v[0:1], v[2:3] op_sel:[0,1] op_sel_hi:[1,0] neg_lo:[0,1] neg_hi:[0,1]
	s_nop 0
	v_mov_b32_e32 v7, v3
	v_pk_fma_f32 v[0:1], v[0:1], 2.0, v[6:7] op_sel_hi:[1,0,1] neg_lo:[0,0,1] neg_hi:[0,0,1]
	ds_write_b64 v148, v[0:1] offset:5200
	ds_write_b64 v148, v[8:9] offset:7904
	;; [unrolled: 1-line block ×3, first 2 shown]
.LBB0_9:
	s_or_b64 exec, exec, s[0:1]
	v_accvgpr_read_b32 v2, a22
	s_waitcnt lgkmcnt(0)
	; wave barrier
	s_waitcnt lgkmcnt(0)
	ds_read2_b64 v[6:9], v148 offset1:52
	v_mad_u64_u32 v[12:13], s[0:1], s6, v2, 0
	v_mov_b32_e32 v0, v13
	v_mad_u64_u32 v[0:1], s[0:1], s7, v2, v[0:1]
	v_accvgpr_read_b32 v2, a36
	v_accvgpr_read_b32 v3, a37
	v_mov_b32_e32 v13, v0
	s_waitcnt lgkmcnt(0)
	v_mul_f32_e32 v0, v3, v7
	v_fmac_f32_e32 v0, v2, v6
	s_mov_b32 s0, 0x7ab2bedd
	v_cvt_f64_f32_e32 v[0:1], v0
	s_mov_b32 s1, 0x3f483c97
	v_mul_f64 v[0:1], v[0:1], s[0:1]
	v_cvt_f32_f64_e32 v14, v[0:1]
	v_mul_f32_e32 v0, v3, v6
	v_fma_f32 v0, v2, v7, -v0
	v_cvt_f64_f32_e32 v[0:1], v0
	v_accvgpr_read_b32 v2, a24
	v_mul_f64 v[0:1], v[0:1], s[0:1]
	v_mad_u64_u32 v[6:7], s[2:3], s4, v2, 0
	v_cvt_f32_f64_e32 v15, v[0:1]
	v_mov_b32_e32 v0, v7
	v_add_u32_e32 v19, 0x1000, v148
	v_mad_u64_u32 v[20:21], s[2:3], s5, v2, v[0:1]
	ds_read2_b64 v[0:3], v19 offset0:112 offset1:164
	v_mov_b32_e32 v10, s12
	v_mov_b32_e32 v11, s13
	;; [unrolled: 1-line block ×3, first 2 shown]
	v_lshl_add_u64 v[20:21], v[12:13], 3, v[10:11]
	v_accvgpr_read_b32 v12, a32
	v_accvgpr_read_b32 v13, a33
	s_waitcnt lgkmcnt(0)
	v_mul_f32_e32 v5, v13, v3
	v_fmac_f32_e32 v5, v12, v2
	v_mul_f32_e32 v2, v13, v2
	v_fma_f32 v2, v12, v3, -v2
	v_accvgpr_read_b32 v12, a30
	v_cvt_f64_f32_e32 v[10:11], v5
	v_cvt_f64_f32_e32 v[2:3], v2
	v_accvgpr_read_b32 v13, a31
	v_lshl_add_u64 v[6:7], v[6:7], 3, v[20:21]
	v_mul_f64 v[10:11], v[10:11], s[0:1]
	v_mul_f64 v[2:3], v[2:3], s[0:1]
	v_mov_b32_e32 v22, 0x1520
	v_mul_f32_e32 v5, v13, v9
	v_cvt_f32_f64_e32 v10, v[10:11]
	v_cvt_f32_f64_e32 v11, v[2:3]
	v_mad_u64_u32 v[2:3], s[2:3], s4, v22, v[6:7]
	v_fmac_f32_e32 v5, v12, v8
	global_store_dwordx2 v[6:7], v[14:15], off
	s_mul_i32 s2, s5, 0x1520
	v_cvt_f64_f32_e32 v[6:7], v5
	v_mul_f32_e32 v5, v13, v8
	v_add_u32_e32 v3, s2, v3
	v_mul_f64 v[6:7], v[6:7], s[0:1]
	v_fma_f32 v5, v12, v9, -v5
	global_store_dwordx2 v[2:3], v[10:11], off
	v_cvt_f32_f64_e32 v10, v[6:7]
	v_cvt_f64_f32_e32 v[6:7], v5
	v_mul_f64 v[6:7], v[6:7], s[0:1]
	v_add_u32_e32 v5, 0x1400, v148
	v_cvt_f32_f64_e32 v11, v[6:7]
	ds_read2_b64 v[6:9], v5 offset0:88 offset1:140
	v_accvgpr_read_b32 v12, a26
	v_mov_b32_e32 v23, 0xffffec80
	s_mul_i32 s3, s5, 0xffffec80
	v_accvgpr_read_b32 v13, a27
	v_mad_u64_u32 v[2:3], s[6:7], s4, v23, v[2:3]
	s_sub_i32 s3, s3, s4
	s_waitcnt lgkmcnt(0)
	v_mul_f32_e32 v5, v13, v7
	v_add_u32_e32 v3, s3, v3
	v_fmac_f32_e32 v5, v12, v6
	global_store_dwordx2 v[2:3], v[10:11], off
	v_cvt_f64_f32_e32 v[10:11], v5
	v_mul_f32_e32 v5, v13, v6
	v_mul_f64 v[10:11], v[10:11], s[0:1]
	v_fma_f32 v5, v12, v7, -v5
	v_cvt_f32_f64_e32 v14, v[10:11]
	v_cvt_f64_f32_e32 v[6:7], v5
	ds_read2_b64 v[10:13], v148 offset0:104 offset1:156
	v_mul_f64 v[6:7], v[6:7], s[0:1]
	v_mad_u64_u32 v[2:3], s[6:7], s4, v22, v[2:3]
	v_cvt_f32_f64_e32 v15, v[6:7]
	v_add_u32_e32 v3, s2, v3
	global_store_dwordx2 v[2:3], v[14:15], off
	v_accvgpr_read_b32 v14, a20
	v_accvgpr_read_b32 v15, a21
	s_waitcnt lgkmcnt(0)
	v_mul_f32_e32 v5, v15, v11
	v_fmac_f32_e32 v5, v14, v10
	v_cvt_f64_f32_e32 v[6:7], v5
	v_mul_f32_e32 v5, v15, v10
	v_fma_f32 v5, v14, v11, -v5
	v_cvt_f64_f32_e32 v[10:11], v5
	v_mul_f64 v[6:7], v[6:7], s[0:1]
	v_mul_f64 v[10:11], v[10:11], s[0:1]
	v_cvt_f32_f64_e32 v6, v[6:7]
	v_cvt_f32_f64_e32 v7, v[10:11]
	v_accvgpr_read_b32 v10, a16
	v_accvgpr_read_b32 v11, a17
	v_mad_u64_u32 v[2:3], s[6:7], s4, v23, v[2:3]
	v_mul_f32_e32 v5, v11, v9
	v_add_u32_e32 v3, s3, v3
	v_fmac_f32_e32 v5, v10, v8
	global_store_dwordx2 v[2:3], v[6:7], off
	v_cvt_f64_f32_e32 v[6:7], v5
	v_mul_f32_e32 v5, v11, v8
	v_fma_f32 v5, v10, v9, -v5
	v_cvt_f64_f32_e32 v[8:9], v5
	v_mul_f64 v[6:7], v[6:7], s[0:1]
	v_mul_f64 v[8:9], v[8:9], s[0:1]
	v_cvt_f32_f64_e32 v6, v[6:7]
	v_cvt_f32_f64_e32 v7, v[8:9]
	v_accvgpr_read_b32 v8, a14
	v_accvgpr_read_b32 v9, a15
	v_mad_u64_u32 v[2:3], s[6:7], s4, v22, v[2:3]
	v_mul_f32_e32 v5, v9, v13
	v_add_u32_e32 v3, s2, v3
	v_fmac_f32_e32 v5, v8, v12
	global_store_dwordx2 v[2:3], v[6:7], off
	v_cvt_f64_f32_e32 v[6:7], v5
	v_mul_f32_e32 v5, v9, v12
	v_mul_f64 v[6:7], v[6:7], s[0:1]
	v_fma_f32 v5, v8, v13, -v5
	v_cvt_f32_f64_e32 v10, v[6:7]
	v_cvt_f64_f32_e32 v[6:7], v5
	v_mul_f64 v[6:7], v[6:7], s[0:1]
	v_cvt_f32_f64_e32 v11, v[6:7]
	ds_read2_b64 v[6:9], v18 offset0:64 offset1:116
	v_accvgpr_read_b32 v15, a13
	v_mad_u64_u32 v[12:13], s[6:7], s4, v23, v[2:3]
	v_accvgpr_read_b32 v14, a12
	s_waitcnt lgkmcnt(0)
	v_mul_f32_e32 v2, v15, v7
	v_fmac_f32_e32 v2, v14, v6
	v_cvt_f64_f32_e32 v[2:3], v2
	v_add_u32_e32 v13, s3, v13
	v_mul_f64 v[2:3], v[2:3], s[0:1]
	global_store_dwordx2 v[12:13], v[10:11], off
	v_cvt_f32_f64_e32 v10, v[2:3]
	v_mul_f32_e32 v2, v15, v6
	v_fma_f32 v2, v14, v7, -v2
	v_cvt_f64_f32_e32 v[2:3], v2
	v_accvgpr_read_b32 v15, a6
	v_mul_f64 v[2:3], v[2:3], s[0:1]
	v_mad_u64_u32 v[6:7], s[6:7], s4, v15, 0
	v_cvt_f32_f64_e32 v11, v[2:3]
	v_mov_b32_e32 v14, v7
	ds_read2_b64 v[2:5], v4 offset0:80 offset1:132
	v_mad_u64_u32 v[14:15], s[6:7], s5, v15, v[14:15]
	v_mov_b32_e32 v7, v14
	v_lshl_add_u64 v[6:7], v[6:7], 3, v[20:21]
	global_store_dwordx2 v[6:7], v[10:11], off
	v_accvgpr_read_b32 v11, a9
	v_accvgpr_read_b32 v10, a8
	s_waitcnt lgkmcnt(0)
	v_mul_f32_e32 v6, v11, v3
	v_fmac_f32_e32 v6, v10, v2
	v_mul_f32_e32 v2, v11, v2
	v_fma_f32 v2, v10, v3, -v2
	v_cvt_f64_f32_e32 v[6:7], v6
	v_cvt_f64_f32_e32 v[2:3], v2
	v_mul_f64 v[6:7], v[6:7], s[0:1]
	v_mul_f64 v[2:3], v[2:3], s[0:1]
	v_cvt_f32_f64_e32 v6, v[6:7]
	v_cvt_f32_f64_e32 v7, v[2:3]
	v_mov_b32_e32 v2, 0x1a0
	v_mad_u64_u32 v[2:3], s[6:7], s4, v2, v[12:13]
	s_mulk_i32 s5, 0x1a0
	v_accvgpr_read_b32 v10, a54
	v_add_u32_e32 v3, s5, v3
	v_accvgpr_read_b32 v11, a55
	global_store_dwordx2 v[2:3], v[6:7], off
	v_mul_f32_e32 v6, v11, v9
	v_fmac_f32_e32 v6, v10, v8
	v_cvt_f64_f32_e32 v[6:7], v6
	v_mul_f64 v[6:7], v[6:7], s[0:1]
	v_cvt_f32_f64_e32 v6, v[6:7]
	v_mul_f32_e32 v7, v11, v8
	v_fma_f32 v7, v10, v9, -v7
	v_cvt_f64_f32_e32 v[8:9], v7
	v_accvgpr_read_b32 v10, a56
	v_mul_f64 v[8:9], v[8:9], s[0:1]
	v_accvgpr_read_b32 v11, a57
	v_cvt_f32_f64_e32 v7, v[8:9]
	v_mad_u64_u32 v[8:9], s[6:7], s4, v22, v[2:3]
	v_mul_f32_e32 v2, v11, v5
	v_fmac_f32_e32 v2, v10, v4
	v_cvt_f64_f32_e32 v[2:3], v2
	v_add_u32_e32 v9, s2, v9
	v_mul_f64 v[2:3], v[2:3], s[0:1]
	global_store_dwordx2 v[8:9], v[6:7], off
	v_cvt_f32_f64_e32 v6, v[2:3]
	v_mul_f32_e32 v2, v11, v4
	v_fma_f32 v2, v10, v5, -v2
	v_cvt_f64_f32_e32 v[2:3], v2
	v_mul_f64 v[2:3], v[2:3], s[0:1]
	v_cvt_f32_f64_e32 v7, v[2:3]
	ds_read2_b64 v[2:5], v18 offset0:168 offset1:220
	v_mad_u64_u32 v[10:11], s[6:7], s4, v23, v[8:9]
	v_accvgpr_read_b32 v8, a48
	v_add_u32_e32 v11, s3, v11
	v_accvgpr_read_b32 v9, a49
	global_store_dwordx2 v[10:11], v[6:7], off
	s_waitcnt lgkmcnt(0)
	v_mul_f32_e32 v6, v9, v3
	v_fmac_f32_e32 v6, v8, v2
	v_mul_f32_e32 v2, v9, v2
	v_cvt_f64_f32_e32 v[6:7], v6
	v_fma_f32 v2, v8, v3, -v2
	v_mul_f64 v[6:7], v[6:7], s[0:1]
	v_cvt_f64_f32_e32 v[2:3], v2
	v_cvt_f32_f64_e32 v12, v[6:7]
	v_mul_f64 v[2:3], v[2:3], s[0:1]
	ds_read2_b64 v[6:9], v17 offset0:56 offset1:108
	v_cvt_f32_f64_e32 v13, v[2:3]
	v_mad_u64_u32 v[2:3], s[6:7], s4, v22, v[10:11]
	v_add_u32_e32 v3, s2, v3
	global_store_dwordx2 v[2:3], v[12:13], off
	v_accvgpr_read_b32 v12, a52
	v_accvgpr_read_b32 v13, a53
	s_waitcnt lgkmcnt(0)
	v_mul_f32_e32 v10, v13, v7
	v_fmac_f32_e32 v10, v12, v6
	v_mul_f32_e32 v6, v13, v6
	v_fma_f32 v6, v12, v7, -v6
	v_cvt_f64_f32_e32 v[10:11], v10
	v_cvt_f64_f32_e32 v[6:7], v6
	v_mul_f64 v[10:11], v[10:11], s[0:1]
	v_mul_f64 v[6:7], v[6:7], s[0:1]
	v_mad_u64_u32 v[2:3], s[6:7], s4, v23, v[2:3]
	v_cvt_f32_f64_e32 v10, v[10:11]
	v_cvt_f32_f64_e32 v11, v[6:7]
	v_add_u32_e32 v3, s3, v3
	global_store_dwordx2 v[2:3], v[10:11], off
	v_accvgpr_read_b32 v10, a50
	v_accvgpr_read_b32 v11, a51
	v_mul_f32_e32 v6, v11, v5
	v_fmac_f32_e32 v6, v10, v4
	v_mul_f32_e32 v4, v11, v4
	v_fma_f32 v4, v10, v5, -v4
	v_cvt_f64_f32_e32 v[6:7], v6
	v_cvt_f64_f32_e32 v[4:5], v4
	v_mul_f64 v[6:7], v[6:7], s[0:1]
	v_mul_f64 v[4:5], v[4:5], s[0:1]
	v_cvt_f32_f64_e32 v6, v[6:7]
	v_cvt_f32_f64_e32 v7, v[4:5]
	v_accvgpr_read_b32 v4, a46
	v_accvgpr_read_b32 v5, a47
	v_mad_u64_u32 v[10:11], s[6:7], s4, v22, v[2:3]
	v_mul_f32_e32 v2, v5, v9
	v_fmac_f32_e32 v2, v4, v8
	v_cvt_f64_f32_e32 v[2:3], v2
	v_add_u32_e32 v11, s2, v11
	v_mul_f64 v[2:3], v[2:3], s[0:1]
	global_store_dwordx2 v[10:11], v[6:7], off
	v_cvt_f32_f64_e32 v6, v[2:3]
	v_mul_f32_e32 v2, v5, v8
	v_fma_f32 v2, v4, v9, -v2
	v_cvt_f64_f32_e32 v[2:3], v2
	v_mul_f64 v[2:3], v[2:3], s[0:1]
	v_cvt_f32_f64_e32 v7, v[2:3]
	ds_read2_b64 v[2:5], v16 offset0:16 offset1:68
	v_mad_u64_u32 v[10:11], s[6:7], s4, v23, v[10:11]
	v_accvgpr_read_b32 v8, a42
	v_add_u32_e32 v11, s3, v11
	v_accvgpr_read_b32 v9, a43
	global_store_dwordx2 v[10:11], v[6:7], off
	s_waitcnt lgkmcnt(0)
	v_mul_f32_e32 v6, v9, v3
	v_fmac_f32_e32 v6, v8, v2
	v_mul_f32_e32 v2, v9, v2
	v_cvt_f64_f32_e32 v[6:7], v6
	v_fma_f32 v2, v8, v3, -v2
	v_mul_f64 v[6:7], v[6:7], s[0:1]
	v_cvt_f64_f32_e32 v[2:3], v2
	v_cvt_f32_f64_e32 v12, v[6:7]
	v_mul_f64 v[2:3], v[2:3], s[0:1]
	ds_read2_b64 v[6:9], v17 offset0:160 offset1:212
	v_cvt_f32_f64_e32 v13, v[2:3]
	v_mad_u64_u32 v[2:3], s[6:7], s4, v22, v[10:11]
	v_add_u32_e32 v3, s2, v3
	global_store_dwordx2 v[2:3], v[12:13], off
	v_accvgpr_read_b32 v12, a44
	v_accvgpr_read_b32 v13, a45
	s_waitcnt lgkmcnt(0)
	v_mul_f32_e32 v10, v13, v7
	v_fmac_f32_e32 v10, v12, v6
	v_mul_f32_e32 v6, v13, v6
	v_fma_f32 v6, v12, v7, -v6
	v_cvt_f64_f32_e32 v[10:11], v10
	v_cvt_f64_f32_e32 v[6:7], v6
	v_mul_f64 v[10:11], v[10:11], s[0:1]
	v_mul_f64 v[6:7], v[6:7], s[0:1]
	v_mad_u64_u32 v[2:3], s[6:7], s4, v23, v[2:3]
	v_cvt_f32_f64_e32 v10, v[10:11]
	v_cvt_f32_f64_e32 v11, v[6:7]
	v_add_u32_e32 v3, s3, v3
	global_store_dwordx2 v[2:3], v[10:11], off
	v_accvgpr_read_b32 v10, a38
	v_accvgpr_read_b32 v11, a39
	v_mul_f32_e32 v6, v11, v5
	v_fmac_f32_e32 v6, v10, v4
	v_mul_f32_e32 v4, v11, v4
	v_fma_f32 v4, v10, v5, -v4
	v_cvt_f64_f32_e32 v[6:7], v6
	v_cvt_f64_f32_e32 v[4:5], v4
	v_mul_f64 v[6:7], v[6:7], s[0:1]
	v_mul_f64 v[4:5], v[4:5], s[0:1]
	v_cvt_f32_f64_e32 v6, v[6:7]
	v_cvt_f32_f64_e32 v7, v[4:5]
	v_accvgpr_read_b32 v4, a40
	v_accvgpr_read_b32 v5, a41
	v_mad_u64_u32 v[10:11], s[6:7], s4, v22, v[2:3]
	v_mul_f32_e32 v2, v5, v9
	v_fmac_f32_e32 v2, v4, v8
	v_cvt_f64_f32_e32 v[2:3], v2
	v_add_u32_e32 v11, s2, v11
	v_mul_f64 v[2:3], v[2:3], s[0:1]
	global_store_dwordx2 v[10:11], v[6:7], off
	v_cvt_f32_f64_e32 v6, v[2:3]
	v_mul_f32_e32 v2, v5, v8
	v_fma_f32 v2, v4, v9, -v2
	v_cvt_f64_f32_e32 v[2:3], v2
	v_mul_f64 v[2:3], v[2:3], s[0:1]
	v_cvt_f32_f64_e32 v7, v[2:3]
	ds_read2_b64 v[2:5], v16 offset0:120 offset1:172
	v_mad_u64_u32 v[10:11], s[6:7], s4, v23, v[10:11]
	v_accvgpr_read_b32 v8, a28
	v_add_u32_e32 v11, s3, v11
	v_accvgpr_read_b32 v9, a29
	global_store_dwordx2 v[10:11], v[6:7], off
	s_waitcnt lgkmcnt(0)
	v_mul_f32_e32 v6, v9, v3
	v_fmac_f32_e32 v6, v8, v2
	v_cvt_f64_f32_e32 v[6:7], v6
	v_mul_f32_e32 v2, v9, v2
	v_mul_f64 v[6:7], v[6:7], s[0:1]
	v_fma_f32 v2, v8, v3, -v2
	v_cvt_f32_f64_e32 v12, v[6:7]
	v_cvt_f64_f32_e32 v[2:3], v2
	ds_read2_b64 v[6:9], v19 offset0:8 offset1:60
	v_mul_f64 v[2:3], v[2:3], s[0:1]
	v_cvt_f32_f64_e32 v13, v[2:3]
	v_mad_u64_u32 v[2:3], s[6:7], s4, v22, v[10:11]
	v_add_u32_e32 v3, s2, v3
	global_store_dwordx2 v[2:3], v[12:13], off
	v_accvgpr_read_b32 v13, a5
	v_accvgpr_read_b32 v12, a4
	s_waitcnt lgkmcnt(0)
	v_mul_f32_e32 v10, v13, v7
	v_fmac_f32_e32 v10, v12, v6
	v_mul_f32_e32 v6, v13, v6
	v_fma_f32 v6, v12, v7, -v6
	v_cvt_f64_f32_e32 v[10:11], v10
	v_cvt_f64_f32_e32 v[6:7], v6
	v_mul_f64 v[10:11], v[10:11], s[0:1]
	v_mul_f64 v[6:7], v[6:7], s[0:1]
	v_mad_u64_u32 v[2:3], s[6:7], s4, v23, v[2:3]
	v_cvt_f32_f64_e32 v10, v[10:11]
	v_cvt_f32_f64_e32 v11, v[6:7]
	v_add_u32_e32 v3, s3, v3
	global_store_dwordx2 v[2:3], v[10:11], off
	v_accvgpr_read_b32 v10, a34
	v_accvgpr_read_b32 v11, a35
	v_mul_f32_e32 v6, v11, v5
	v_fmac_f32_e32 v6, v10, v4
	v_mul_f32_e32 v4, v11, v4
	v_fma_f32 v4, v10, v5, -v4
	v_cvt_f64_f32_e32 v[6:7], v6
	v_cvt_f64_f32_e32 v[4:5], v4
	v_mul_f64 v[6:7], v[6:7], s[0:1]
	v_mul_f64 v[4:5], v[4:5], s[0:1]
	v_cvt_f32_f64_e32 v6, v[6:7]
	v_cvt_f32_f64_e32 v7, v[4:5]
	v_accvgpr_read_b32 v5, a3
	v_mad_u64_u32 v[10:11], s[6:7], s4, v22, v[2:3]
	v_accvgpr_read_b32 v4, a2
	v_mul_f32_e32 v2, v5, v9
	v_fmac_f32_e32 v2, v4, v8
	v_cvt_f64_f32_e32 v[2:3], v2
	v_add_u32_e32 v11, s2, v11
	v_mul_f64 v[2:3], v[2:3], s[0:1]
	global_store_dwordx2 v[10:11], v[6:7], off
	v_cvt_f32_f64_e32 v6, v[2:3]
	v_mul_f32_e32 v2, v5, v8
	v_fma_f32 v2, v4, v9, -v2
	v_cvt_f64_f32_e32 v[2:3], v2
	v_mul_f64 v[2:3], v[2:3], s[0:1]
	v_cvt_f32_f64_e32 v7, v[2:3]
	v_add_u32_e32 v2, 0x2400, v148
	ds_read2_b64 v[2:5], v2 offset0:96 offset1:148
	v_mad_u64_u32 v[8:9], s[6:7], s4, v23, v[10:11]
	v_accvgpr_read_b32 v10, a18
	v_add_u32_e32 v9, s3, v9
	v_accvgpr_read_b32 v11, a19
	global_store_dwordx2 v[8:9], v[6:7], off
	s_waitcnt lgkmcnt(0)
	v_mul_f32_e32 v6, v11, v3
	v_fmac_f32_e32 v6, v10, v2
	v_mul_f32_e32 v2, v11, v2
	v_fma_f32 v2, v10, v3, -v2
	v_cvt_f64_f32_e32 v[6:7], v6
	v_cvt_f64_f32_e32 v[2:3], v2
	v_mul_f64 v[6:7], v[6:7], s[0:1]
	v_mul_f64 v[2:3], v[2:3], s[0:1]
	v_cvt_f32_f64_e32 v6, v[6:7]
	v_cvt_f32_f64_e32 v7, v[2:3]
	v_mad_u64_u32 v[2:3], s[6:7], s4, v22, v[8:9]
	v_add_u32_e32 v3, s2, v3
	v_accvgpr_read_b32 v9, a1
	global_store_dwordx2 v[2:3], v[6:7], off
	v_accvgpr_read_b32 v8, a0
	v_mul_f32_e32 v6, v9, v1
	v_fmac_f32_e32 v6, v8, v0
	v_mul_f32_e32 v0, v9, v0
	v_fma_f32 v0, v8, v1, -v0
	v_cvt_f64_f32_e32 v[6:7], v6
	v_cvt_f64_f32_e32 v[0:1], v0
	v_mul_f64 v[6:7], v[6:7], s[0:1]
	v_mul_f64 v[0:1], v[0:1], s[0:1]
	v_cvt_f32_f64_e32 v6, v[6:7]
	v_cvt_f32_f64_e32 v7, v[0:1]
	v_mad_u64_u32 v[0:1], s[6:7], s4, v23, v[2:3]
	v_add_u32_e32 v1, s3, v1
	global_store_dwordx2 v[0:1], v[6:7], off
	v_accvgpr_read_b32 v6, a10
	v_accvgpr_read_b32 v7, a11
	v_mul_f32_e32 v2, v7, v5
	v_fmac_f32_e32 v2, v6, v4
	v_cvt_f64_f32_e32 v[2:3], v2
	v_mul_f64 v[2:3], v[2:3], s[0:1]
	v_cvt_f32_f64_e32 v2, v[2:3]
	v_mul_f32_e32 v3, v7, v4
	v_fma_f32 v3, v6, v5, -v3
	v_cvt_f64_f32_e32 v[4:5], v3
	v_mul_f64 v[4:5], v[4:5], s[0:1]
	v_mad_u64_u32 v[0:1], s[0:1], s4, v22, v[0:1]
	v_cvt_f32_f64_e32 v3, v[4:5]
	v_add_u32_e32 v1, s2, v1
	global_store_dwordx2 v[0:1], v[2:3], off
.LBB0_10:
	s_endpgm
	.section	.rodata,"a",@progbits
	.p2align	6, 0x0
	.amdhsa_kernel bluestein_single_fwd_len1352_dim1_sp_op_CI_CI
		.amdhsa_group_segment_fixed_size 10816
		.amdhsa_private_segment_fixed_size 0
		.amdhsa_kernarg_size 104
		.amdhsa_user_sgpr_count 2
		.amdhsa_user_sgpr_dispatch_ptr 0
		.amdhsa_user_sgpr_queue_ptr 0
		.amdhsa_user_sgpr_kernarg_segment_ptr 1
		.amdhsa_user_sgpr_dispatch_id 0
		.amdhsa_user_sgpr_kernarg_preload_length 0
		.amdhsa_user_sgpr_kernarg_preload_offset 0
		.amdhsa_user_sgpr_private_segment_size 0
		.amdhsa_uses_dynamic_stack 0
		.amdhsa_enable_private_segment 0
		.amdhsa_system_sgpr_workgroup_id_x 1
		.amdhsa_system_sgpr_workgroup_id_y 0
		.amdhsa_system_sgpr_workgroup_id_z 0
		.amdhsa_system_sgpr_workgroup_info 0
		.amdhsa_system_vgpr_workitem_id 0
		.amdhsa_next_free_vgpr 414
		.amdhsa_next_free_sgpr 62
		.amdhsa_accum_offset 256
		.amdhsa_reserve_vcc 1
		.amdhsa_float_round_mode_32 0
		.amdhsa_float_round_mode_16_64 0
		.amdhsa_float_denorm_mode_32 3
		.amdhsa_float_denorm_mode_16_64 3
		.amdhsa_dx10_clamp 1
		.amdhsa_ieee_mode 1
		.amdhsa_fp16_overflow 0
		.amdhsa_tg_split 0
		.amdhsa_exception_fp_ieee_invalid_op 0
		.amdhsa_exception_fp_denorm_src 0
		.amdhsa_exception_fp_ieee_div_zero 0
		.amdhsa_exception_fp_ieee_overflow 0
		.amdhsa_exception_fp_ieee_underflow 0
		.amdhsa_exception_fp_ieee_inexact 0
		.amdhsa_exception_int_div_zero 0
	.end_amdhsa_kernel
	.text
.Lfunc_end0:
	.size	bluestein_single_fwd_len1352_dim1_sp_op_CI_CI, .Lfunc_end0-bluestein_single_fwd_len1352_dim1_sp_op_CI_CI
                                        ; -- End function
	.section	.AMDGPU.csdata,"",@progbits
; Kernel info:
; codeLenInByte = 34972
; NumSgprs: 68
; NumVgprs: 256
; NumAgprs: 158
; TotalNumVgprs: 414
; ScratchSize: 0
; MemoryBound: 0
; FloatMode: 240
; IeeeMode: 1
; LDSByteSize: 10816 bytes/workgroup (compile time only)
; SGPRBlocks: 8
; VGPRBlocks: 51
; NumSGPRsForWavesPerEU: 68
; NumVGPRsForWavesPerEU: 414
; AccumOffset: 256
; Occupancy: 1
; WaveLimiterHint : 1
; COMPUTE_PGM_RSRC2:SCRATCH_EN: 0
; COMPUTE_PGM_RSRC2:USER_SGPR: 2
; COMPUTE_PGM_RSRC2:TRAP_HANDLER: 0
; COMPUTE_PGM_RSRC2:TGID_X_EN: 1
; COMPUTE_PGM_RSRC2:TGID_Y_EN: 0
; COMPUTE_PGM_RSRC2:TGID_Z_EN: 0
; COMPUTE_PGM_RSRC2:TIDIG_COMP_CNT: 0
; COMPUTE_PGM_RSRC3_GFX90A:ACCUM_OFFSET: 63
; COMPUTE_PGM_RSRC3_GFX90A:TG_SPLIT: 0
	.text
	.p2alignl 6, 3212836864
	.fill 256, 4, 3212836864
	.type	__hip_cuid_135735bac8b570f8,@object ; @__hip_cuid_135735bac8b570f8
	.section	.bss,"aw",@nobits
	.globl	__hip_cuid_135735bac8b570f8
__hip_cuid_135735bac8b570f8:
	.byte	0                               ; 0x0
	.size	__hip_cuid_135735bac8b570f8, 1

	.ident	"AMD clang version 19.0.0git (https://github.com/RadeonOpenCompute/llvm-project roc-6.4.0 25133 c7fe45cf4b819c5991fe208aaa96edf142730f1d)"
	.section	".note.GNU-stack","",@progbits
	.addrsig
	.addrsig_sym __hip_cuid_135735bac8b570f8
	.amdgpu_metadata
---
amdhsa.kernels:
  - .agpr_count:     158
    .args:
      - .actual_access:  read_only
        .address_space:  global
        .offset:         0
        .size:           8
        .value_kind:     global_buffer
      - .actual_access:  read_only
        .address_space:  global
        .offset:         8
        .size:           8
        .value_kind:     global_buffer
      - .actual_access:  read_only
        .address_space:  global
        .offset:         16
        .size:           8
        .value_kind:     global_buffer
      - .actual_access:  read_only
        .address_space:  global
        .offset:         24
        .size:           8
        .value_kind:     global_buffer
      - .actual_access:  read_only
        .address_space:  global
        .offset:         32
        .size:           8
        .value_kind:     global_buffer
      - .offset:         40
        .size:           8
        .value_kind:     by_value
      - .address_space:  global
        .offset:         48
        .size:           8
        .value_kind:     global_buffer
      - .address_space:  global
        .offset:         56
        .size:           8
        .value_kind:     global_buffer
      - .address_space:  global
        .offset:         64
        .size:           8
        .value_kind:     global_buffer
      - .address_space:  global
        .offset:         72
        .size:           8
        .value_kind:     global_buffer
      - .offset:         80
        .size:           4
        .value_kind:     by_value
      - .address_space:  global
        .offset:         88
        .size:           8
        .value_kind:     global_buffer
      - .address_space:  global
        .offset:         96
        .size:           8
        .value_kind:     global_buffer
    .group_segment_fixed_size: 10816
    .kernarg_segment_align: 8
    .kernarg_segment_size: 104
    .language:       OpenCL C
    .language_version:
      - 2
      - 0
    .max_flat_workgroup_size: 52
    .name:           bluestein_single_fwd_len1352_dim1_sp_op_CI_CI
    .private_segment_fixed_size: 0
    .sgpr_count:     68
    .sgpr_spill_count: 0
    .symbol:         bluestein_single_fwd_len1352_dim1_sp_op_CI_CI.kd
    .uniform_work_group_size: 1
    .uses_dynamic_stack: false
    .vgpr_count:     414
    .vgpr_spill_count: 0
    .wavefront_size: 64
amdhsa.target:   amdgcn-amd-amdhsa--gfx950
amdhsa.version:
  - 1
  - 2
...

	.end_amdgpu_metadata
